;; amdgpu-corpus repo=ROCm/rocFFT kind=compiled arch=gfx1201 opt=O3
	.text
	.amdgcn_target "amdgcn-amd-amdhsa--gfx1201"
	.amdhsa_code_object_version 6
	.protected	fft_rtc_back_len2430_factors_10_3_3_3_3_3_wgs_81_tpt_81_halfLds_sp_ip_CI_sbrr_dirReg ; -- Begin function fft_rtc_back_len2430_factors_10_3_3_3_3_3_wgs_81_tpt_81_halfLds_sp_ip_CI_sbrr_dirReg
	.globl	fft_rtc_back_len2430_factors_10_3_3_3_3_3_wgs_81_tpt_81_halfLds_sp_ip_CI_sbrr_dirReg
	.p2align	8
	.type	fft_rtc_back_len2430_factors_10_3_3_3_3_3_wgs_81_tpt_81_halfLds_sp_ip_CI_sbrr_dirReg,@function
fft_rtc_back_len2430_factors_10_3_3_3_3_3_wgs_81_tpt_81_halfLds_sp_ip_CI_sbrr_dirReg: ; @fft_rtc_back_len2430_factors_10_3_3_3_3_3_wgs_81_tpt_81_halfLds_sp_ip_CI_sbrr_dirReg
; %bb.0:
	s_clause 0x2
	s_load_b64 s[12:13], s[0:1], 0x18
	s_load_b128 s[4:7], s[0:1], 0x0
	s_load_b64 s[10:11], s[0:1], 0x50
	v_mul_u32_u24_e32 v1, 0x32a, v0
	v_mov_b32_e32 v3, 0
	s_delay_alu instid0(VALU_DEP_2) | instskip(NEXT) | instid1(VALU_DEP_1)
	v_lshrrev_b32_e32 v1, 16, v1
	v_add_nc_u32_e32 v5, ttmp9, v1
	v_mov_b32_e32 v1, 0
	v_mov_b32_e32 v2, 0
	;; [unrolled: 1-line block ×3, first 2 shown]
	s_wait_kmcnt 0x0
	s_load_b64 s[8:9], s[12:13], 0x0
	v_cmp_lt_u64_e64 s2, s[6:7], 2
	s_delay_alu instid0(VALU_DEP_1)
	s_and_b32 vcc_lo, exec_lo, s2
	s_cbranch_vccnz .LBB0_8
; %bb.1:
	s_load_b64 s[2:3], s[0:1], 0x10
	v_mov_b32_e32 v1, 0
	v_mov_b32_e32 v2, 0
	s_add_nc_u64 s[14:15], s[12:13], 8
	s_mov_b64 s[16:17], 1
	s_wait_kmcnt 0x0
	s_add_nc_u64 s[18:19], s[2:3], 8
	s_mov_b32 s3, 0
.LBB0_2:                                ; =>This Inner Loop Header: Depth=1
	s_load_b64 s[20:21], s[18:19], 0x0
                                        ; implicit-def: $vgpr7_vgpr8
	s_mov_b32 s2, exec_lo
	s_wait_kmcnt 0x0
	v_or_b32_e32 v4, s21, v6
	s_delay_alu instid0(VALU_DEP_1)
	v_cmpx_ne_u64_e32 0, v[3:4]
	s_wait_alu 0xfffe
	s_xor_b32 s22, exec_lo, s2
	s_cbranch_execz .LBB0_4
; %bb.3:                                ;   in Loop: Header=BB0_2 Depth=1
	s_cvt_f32_u32 s2, s20
	s_cvt_f32_u32 s23, s21
	s_sub_nc_u64 s[26:27], 0, s[20:21]
	s_wait_alu 0xfffe
	s_delay_alu instid0(SALU_CYCLE_1) | instskip(SKIP_1) | instid1(SALU_CYCLE_2)
	s_fmamk_f32 s2, s23, 0x4f800000, s2
	s_wait_alu 0xfffe
	v_s_rcp_f32 s2, s2
	s_delay_alu instid0(TRANS32_DEP_1) | instskip(SKIP_1) | instid1(SALU_CYCLE_2)
	s_mul_f32 s2, s2, 0x5f7ffffc
	s_wait_alu 0xfffe
	s_mul_f32 s23, s2, 0x2f800000
	s_wait_alu 0xfffe
	s_delay_alu instid0(SALU_CYCLE_2) | instskip(SKIP_1) | instid1(SALU_CYCLE_2)
	s_trunc_f32 s23, s23
	s_wait_alu 0xfffe
	s_fmamk_f32 s2, s23, 0xcf800000, s2
	s_cvt_u32_f32 s25, s23
	s_wait_alu 0xfffe
	s_delay_alu instid0(SALU_CYCLE_1) | instskip(SKIP_1) | instid1(SALU_CYCLE_2)
	s_cvt_u32_f32 s24, s2
	s_wait_alu 0xfffe
	s_mul_u64 s[28:29], s[26:27], s[24:25]
	s_wait_alu 0xfffe
	s_mul_hi_u32 s31, s24, s29
	s_mul_i32 s30, s24, s29
	s_mul_hi_u32 s2, s24, s28
	s_mul_i32 s33, s25, s28
	s_wait_alu 0xfffe
	s_add_nc_u64 s[30:31], s[2:3], s[30:31]
	s_mul_hi_u32 s23, s25, s28
	s_mul_hi_u32 s34, s25, s29
	s_add_co_u32 s2, s30, s33
	s_wait_alu 0xfffe
	s_add_co_ci_u32 s2, s31, s23
	s_mul_i32 s28, s25, s29
	s_add_co_ci_u32 s29, s34, 0
	s_wait_alu 0xfffe
	s_add_nc_u64 s[28:29], s[2:3], s[28:29]
	s_wait_alu 0xfffe
	v_add_co_u32 v4, s2, s24, s28
	s_delay_alu instid0(VALU_DEP_1) | instskip(SKIP_1) | instid1(VALU_DEP_1)
	s_cmp_lg_u32 s2, 0
	s_add_co_ci_u32 s25, s25, s29
	v_readfirstlane_b32 s24, v4
	s_wait_alu 0xfffe
	s_delay_alu instid0(VALU_DEP_1)
	s_mul_u64 s[26:27], s[26:27], s[24:25]
	s_wait_alu 0xfffe
	s_mul_hi_u32 s29, s24, s27
	s_mul_i32 s28, s24, s27
	s_mul_hi_u32 s2, s24, s26
	s_mul_i32 s30, s25, s26
	s_wait_alu 0xfffe
	s_add_nc_u64 s[28:29], s[2:3], s[28:29]
	s_mul_hi_u32 s23, s25, s26
	s_mul_hi_u32 s24, s25, s27
	s_wait_alu 0xfffe
	s_add_co_u32 s2, s28, s30
	s_add_co_ci_u32 s2, s29, s23
	s_mul_i32 s26, s25, s27
	s_add_co_ci_u32 s27, s24, 0
	s_wait_alu 0xfffe
	s_add_nc_u64 s[26:27], s[2:3], s[26:27]
	s_wait_alu 0xfffe
	v_add_co_u32 v4, s2, v4, s26
	s_delay_alu instid0(VALU_DEP_1) | instskip(SKIP_1) | instid1(VALU_DEP_1)
	s_cmp_lg_u32 s2, 0
	s_add_co_ci_u32 s2, s25, s27
	v_mul_hi_u32 v13, v5, v4
	s_wait_alu 0xfffe
	v_mad_co_u64_u32 v[7:8], null, v5, s2, 0
	v_mad_co_u64_u32 v[9:10], null, v6, v4, 0
	;; [unrolled: 1-line block ×3, first 2 shown]
	s_delay_alu instid0(VALU_DEP_3) | instskip(SKIP_1) | instid1(VALU_DEP_4)
	v_add_co_u32 v4, vcc_lo, v13, v7
	s_wait_alu 0xfffd
	v_add_co_ci_u32_e32 v7, vcc_lo, 0, v8, vcc_lo
	s_delay_alu instid0(VALU_DEP_2) | instskip(SKIP_1) | instid1(VALU_DEP_2)
	v_add_co_u32 v4, vcc_lo, v4, v9
	s_wait_alu 0xfffd
	v_add_co_ci_u32_e32 v4, vcc_lo, v7, v10, vcc_lo
	s_wait_alu 0xfffd
	v_add_co_ci_u32_e32 v7, vcc_lo, 0, v12, vcc_lo
	s_delay_alu instid0(VALU_DEP_2) | instskip(SKIP_1) | instid1(VALU_DEP_2)
	v_add_co_u32 v4, vcc_lo, v4, v11
	s_wait_alu 0xfffd
	v_add_co_ci_u32_e32 v9, vcc_lo, 0, v7, vcc_lo
	s_delay_alu instid0(VALU_DEP_2) | instskip(SKIP_1) | instid1(VALU_DEP_3)
	v_mul_lo_u32 v10, s21, v4
	v_mad_co_u64_u32 v[7:8], null, s20, v4, 0
	v_mul_lo_u32 v11, s20, v9
	s_delay_alu instid0(VALU_DEP_2) | instskip(NEXT) | instid1(VALU_DEP_2)
	v_sub_co_u32 v7, vcc_lo, v5, v7
	v_add3_u32 v8, v8, v11, v10
	s_delay_alu instid0(VALU_DEP_1) | instskip(SKIP_1) | instid1(VALU_DEP_1)
	v_sub_nc_u32_e32 v10, v6, v8
	s_wait_alu 0xfffd
	v_subrev_co_ci_u32_e64 v10, s2, s21, v10, vcc_lo
	v_add_co_u32 v11, s2, v4, 2
	s_wait_alu 0xf1ff
	v_add_co_ci_u32_e64 v12, s2, 0, v9, s2
	v_sub_co_u32 v13, s2, v7, s20
	v_sub_co_ci_u32_e32 v8, vcc_lo, v6, v8, vcc_lo
	s_wait_alu 0xf1ff
	v_subrev_co_ci_u32_e64 v10, s2, 0, v10, s2
	s_delay_alu instid0(VALU_DEP_3) | instskip(NEXT) | instid1(VALU_DEP_3)
	v_cmp_le_u32_e32 vcc_lo, s20, v13
	v_cmp_eq_u32_e64 s2, s21, v8
	s_wait_alu 0xfffd
	v_cndmask_b32_e64 v13, 0, -1, vcc_lo
	v_cmp_le_u32_e32 vcc_lo, s21, v10
	s_wait_alu 0xfffd
	v_cndmask_b32_e64 v14, 0, -1, vcc_lo
	v_cmp_le_u32_e32 vcc_lo, s20, v7
	;; [unrolled: 3-line block ×3, first 2 shown]
	s_wait_alu 0xfffd
	v_cndmask_b32_e64 v15, 0, -1, vcc_lo
	v_cmp_eq_u32_e32 vcc_lo, s21, v10
	s_wait_alu 0xf1ff
	s_delay_alu instid0(VALU_DEP_2)
	v_cndmask_b32_e64 v7, v15, v7, s2
	s_wait_alu 0xfffd
	v_cndmask_b32_e32 v10, v14, v13, vcc_lo
	v_add_co_u32 v13, vcc_lo, v4, 1
	s_wait_alu 0xfffd
	v_add_co_ci_u32_e32 v14, vcc_lo, 0, v9, vcc_lo
	s_delay_alu instid0(VALU_DEP_3) | instskip(SKIP_2) | instid1(VALU_DEP_3)
	v_cmp_ne_u32_e32 vcc_lo, 0, v10
	s_wait_alu 0xfffd
	v_cndmask_b32_e32 v10, v13, v11, vcc_lo
	v_cndmask_b32_e32 v8, v14, v12, vcc_lo
	v_cmp_ne_u32_e32 vcc_lo, 0, v7
	s_wait_alu 0xfffd
	s_delay_alu instid0(VALU_DEP_2)
	v_dual_cndmask_b32 v7, v4, v10 :: v_dual_cndmask_b32 v8, v9, v8
.LBB0_4:                                ;   in Loop: Header=BB0_2 Depth=1
	s_wait_alu 0xfffe
	s_and_not1_saveexec_b32 s2, s22
	s_cbranch_execz .LBB0_6
; %bb.5:                                ;   in Loop: Header=BB0_2 Depth=1
	v_cvt_f32_u32_e32 v4, s20
	s_sub_co_i32 s22, 0, s20
	s_delay_alu instid0(VALU_DEP_1) | instskip(NEXT) | instid1(TRANS32_DEP_1)
	v_rcp_iflag_f32_e32 v4, v4
	v_mul_f32_e32 v4, 0x4f7ffffe, v4
	s_delay_alu instid0(VALU_DEP_1) | instskip(SKIP_1) | instid1(VALU_DEP_1)
	v_cvt_u32_f32_e32 v4, v4
	s_wait_alu 0xfffe
	v_mul_lo_u32 v7, s22, v4
	s_delay_alu instid0(VALU_DEP_1) | instskip(NEXT) | instid1(VALU_DEP_1)
	v_mul_hi_u32 v7, v4, v7
	v_add_nc_u32_e32 v4, v4, v7
	s_delay_alu instid0(VALU_DEP_1) | instskip(NEXT) | instid1(VALU_DEP_1)
	v_mul_hi_u32 v4, v5, v4
	v_mul_lo_u32 v7, v4, s20
	v_add_nc_u32_e32 v8, 1, v4
	s_delay_alu instid0(VALU_DEP_2) | instskip(NEXT) | instid1(VALU_DEP_1)
	v_sub_nc_u32_e32 v7, v5, v7
	v_subrev_nc_u32_e32 v9, s20, v7
	v_cmp_le_u32_e32 vcc_lo, s20, v7
	s_wait_alu 0xfffd
	s_delay_alu instid0(VALU_DEP_2) | instskip(NEXT) | instid1(VALU_DEP_1)
	v_dual_cndmask_b32 v7, v7, v9 :: v_dual_cndmask_b32 v4, v4, v8
	v_cmp_le_u32_e32 vcc_lo, s20, v7
	s_delay_alu instid0(VALU_DEP_2) | instskip(SKIP_1) | instid1(VALU_DEP_1)
	v_add_nc_u32_e32 v8, 1, v4
	s_wait_alu 0xfffd
	v_dual_cndmask_b32 v7, v4, v8 :: v_dual_mov_b32 v8, v3
.LBB0_6:                                ;   in Loop: Header=BB0_2 Depth=1
	s_wait_alu 0xfffe
	s_or_b32 exec_lo, exec_lo, s2
	s_load_b64 s[22:23], s[14:15], 0x0
	s_delay_alu instid0(VALU_DEP_1)
	v_mul_lo_u32 v4, v8, s20
	v_mul_lo_u32 v11, v7, s21
	v_mad_co_u64_u32 v[9:10], null, v7, s20, 0
	s_add_nc_u64 s[16:17], s[16:17], 1
	s_add_nc_u64 s[14:15], s[14:15], 8
	s_wait_alu 0xfffe
	v_cmp_ge_u64_e64 s2, s[16:17], s[6:7]
	s_add_nc_u64 s[18:19], s[18:19], 8
	s_delay_alu instid0(VALU_DEP_2) | instskip(NEXT) | instid1(VALU_DEP_3)
	v_add3_u32 v4, v10, v11, v4
	v_sub_co_u32 v5, vcc_lo, v5, v9
	s_wait_alu 0xfffd
	s_delay_alu instid0(VALU_DEP_2) | instskip(SKIP_3) | instid1(VALU_DEP_2)
	v_sub_co_ci_u32_e32 v4, vcc_lo, v6, v4, vcc_lo
	s_and_b32 vcc_lo, exec_lo, s2
	s_wait_kmcnt 0x0
	v_mul_lo_u32 v6, s23, v5
	v_mul_lo_u32 v4, s22, v4
	v_mad_co_u64_u32 v[1:2], null, s22, v5, v[1:2]
	s_delay_alu instid0(VALU_DEP_1)
	v_add3_u32 v2, v6, v2, v4
	s_wait_alu 0xfffe
	s_cbranch_vccnz .LBB0_9
; %bb.7:                                ;   in Loop: Header=BB0_2 Depth=1
	v_dual_mov_b32 v5, v7 :: v_dual_mov_b32 v6, v8
	s_branch .LBB0_2
.LBB0_8:
	v_dual_mov_b32 v8, v6 :: v_dual_mov_b32 v7, v5
.LBB0_9:
	s_lshl_b64 s[2:3], s[6:7], 3
	v_mul_hi_u32 v3, 0x3291620, v0
	s_wait_alu 0xfffe
	s_add_nc_u64 s[2:3], s[12:13], s[2:3]
	s_load_b64 s[0:1], s[0:1], 0x20
	s_load_b64 s[2:3], s[2:3], 0x0
                                        ; implicit-def: $vgpr85
                                        ; implicit-def: $vgpr84
                                        ; implicit-def: $vgpr86
                                        ; implicit-def: $vgpr87
                                        ; implicit-def: $vgpr88
                                        ; implicit-def: $vgpr89
                                        ; implicit-def: $vgpr90
                                        ; implicit-def: $vgpr91
                                        ; implicit-def: $vgpr92
	s_delay_alu instid0(VALU_DEP_1) | instskip(NEXT) | instid1(VALU_DEP_1)
	v_mul_u32_u24_e32 v3, 0x51, v3
	v_sub_nc_u32_e32 v78, v0, v3
	s_delay_alu instid0(VALU_DEP_1)
	v_add_nc_u32_e32 v77, 0x51, v78
	v_add_nc_u32_e32 v76, 0xa2, v78
	;; [unrolled: 1-line block ×4, first 2 shown]
	s_wait_kmcnt 0x0
	v_cmp_gt_u64_e32 vcc_lo, s[0:1], v[7:8]
	v_mul_lo_u32 v3, s2, v8
	v_mul_lo_u32 v4, s3, v7
	v_mad_co_u64_u32 v[0:1], null, s2, v7, v[1:2]
	v_cmp_le_u64_e64 s0, s[0:1], v[7:8]
	v_add_nc_u32_e32 v69, 0x195, v78
	v_add_nc_u32_e32 v67, 0x1e6, v78
	;; [unrolled: 1-line block ×5, first 2 shown]
	v_add3_u32 v1, v4, v1, v3
	s_and_saveexec_b32 s1, s0
	s_wait_alu 0xfffe
	s_xor_b32 s0, exec_lo, s1
; %bb.10:
	v_add_nc_u32_e32 v85, 0x51, v78
	v_add_nc_u32_e32 v84, 0xa2, v78
	v_add_nc_u32_e32 v86, 0xf3, v78
	v_add_nc_u32_e32 v87, 0x144, v78
	v_add_nc_u32_e32 v88, 0x195, v78
	v_add_nc_u32_e32 v89, 0x1e6, v78
	v_add_nc_u32_e32 v90, 0x237, v78
	v_add_nc_u32_e32 v91, 0x288, v78
	v_add_nc_u32_e32 v92, 0x2d9, v78
; %bb.11:
	s_wait_alu 0xfffe
	s_or_saveexec_b32 s1, s0
	v_lshlrev_b64_e32 v[0:1], 3, v[0:1]
	v_add_nc_u32_e32 v79, 0x3cc, v78
	v_add_nc_u32_e32 v80, 0x6a5, v78
	;; [unrolled: 1-line block ×12, first 2 shown]
                                        ; implicit-def: $vgpr25
                                        ; implicit-def: $vgpr21
                                        ; implicit-def: $vgpr29
                                        ; implicit-def: $vgpr23
                                        ; implicit-def: $vgpr37
                                        ; implicit-def: $vgpr27
                                        ; implicit-def: $vgpr41
                                        ; implicit-def: $vgpr19
                                        ; implicit-def: $vgpr17
                                        ; implicit-def: $vgpr11
                                        ; implicit-def: $vgpr31
                                        ; implicit-def: $vgpr33
                                        ; implicit-def: $vgpr39
                                        ; implicit-def: $vgpr35
                                        ; implicit-def: $vgpr15
                                        ; implicit-def: $vgpr13
                                        ; implicit-def: $vgpr45
                                        ; implicit-def: $vgpr9
                                        ; implicit-def: $vgpr7
                                        ; implicit-def: $vgpr5
                                        ; implicit-def: $vgpr55
                                        ; implicit-def: $vgpr61
                                        ; implicit-def: $vgpr49
                                        ; implicit-def: $vgpr57
                                        ; implicit-def: $vgpr51
                                        ; implicit-def: $vgpr59
                                        ; implicit-def: $vgpr47
                                        ; implicit-def: $vgpr53
                                        ; implicit-def: $vgpr43
                                        ; implicit-def: $vgpr3
	s_wait_alu 0xfffe
	s_xor_b32 exec_lo, exec_lo, s1
	s_cbranch_execz .LBB0_13
; %bb.12:
	v_mad_co_u64_u32 v[2:3], null, s8, v78, 0
	v_mad_co_u64_u32 v[4:5], null, s8, v72, 0
	;; [unrolled: 1-line block ×4, first 2 shown]
	v_add_nc_u32_e32 v17, 0x4bf, v78
	v_add_co_u32 v20, s0, s10, v0
	v_mad_co_u64_u32 v[10:11], null, s9, v78, v[3:4]
	v_mov_b32_e32 v3, v7
	v_mad_co_u64_u32 v[11:12], null, s9, v72, v[5:6]
	v_mov_b32_e32 v7, v9
	v_add_nc_u32_e32 v19, 0x5b2, v78
	s_delay_alu instid0(VALU_DEP_4) | instskip(SKIP_1) | instid1(VALU_DEP_4)
	v_mad_co_u64_u32 v[12:13], null, s9, v67, v[3:4]
	v_mov_b32_e32 v3, v10
	v_mad_co_u64_u32 v[9:10], null, s9, v62, v[7:8]
	v_mov_b32_e32 v5, v11
	;; [unrolled: 2-line block ×3, first 2 shown]
	v_mad_co_u64_u32 v[12:13], null, s8, v17, 0
	v_lshlrev_b64_e32 v[2:3], 3, v[2:3]
	s_wait_alu 0xf1ff
	v_add_co_ci_u32_e64 v21, s0, s11, v1, s0
	v_lshlrev_b64_e32 v[4:5], 3, v[4:5]
	v_lshlrev_b64_e32 v[6:7], 3, v[6:7]
	;; [unrolled: 1-line block ×3, first 2 shown]
	v_mad_co_u64_u32 v[14:15], null, s9, v79, v[11:12]
	v_add_co_u32 v2, s0, v20, v2
	v_mad_co_u64_u32 v[15:16], null, s8, v19, 0
	s_wait_alu 0xf1ff
	v_add_co_ci_u32_e64 v3, s0, v21, v3, s0
	v_add_co_u32 v4, s0, v20, v4
	s_wait_alu 0xf1ff
	v_add_co_ci_u32_e64 v5, s0, v21, v5, s0
	v_mov_b32_e32 v11, v14
	v_mad_co_u64_u32 v[13:14], null, s9, v17, v[13:14]
	v_add_co_u32 v6, s0, v20, v6
	v_mad_co_u64_u32 v[17:18], null, s8, v80, 0
	s_wait_alu 0xf1ff
	v_add_co_ci_u32_e64 v7, s0, v21, v7, s0
	v_mov_b32_e32 v14, v16
	v_add_co_u32 v8, s0, v20, v8
	s_wait_alu 0xf1ff
	v_add_co_ci_u32_e64 v9, s0, v21, v9, s0
	s_clause 0x3
	global_load_b64 v[2:3], v[2:3], off
	global_load_b64 v[42:43], v[4:5], off
	;; [unrolled: 1-line block ×4, first 2 shown]
	v_mad_co_u64_u32 v[6:7], null, s9, v19, v[14:15]
	v_lshlrev_b64_e32 v[8:9], 3, v[12:13]
	v_mov_b32_e32 v7, v18
	v_lshlrev_b64_e32 v[4:5], 3, v[10:11]
	v_mad_co_u64_u32 v[13:14], null, s8, v65, 0
	v_mad_co_u64_u32 v[22:23], null, s8, v68, 0
	s_delay_alu instid0(VALU_DEP_4)
	v_mad_co_u64_u32 v[10:11], null, s9, v80, v[7:8]
	v_mad_co_u64_u32 v[11:12], null, s8, v70, 0
	v_add_co_u32 v4, s0, v20, v4
	v_mov_b32_e32 v16, v6
	s_wait_alu 0xf1ff
	v_add_co_ci_u32_e64 v5, s0, v21, v5, s0
	v_add_co_u32 v6, s0, v20, v8
	v_mov_b32_e32 v18, v10
	v_mov_b32_e32 v10, v12
	s_wait_alu 0xf1ff
	v_add_co_ci_u32_e64 v7, s0, v21, v9, s0
	v_lshlrev_b64_e32 v[8:9], 3, v[15:16]
	v_lshlrev_b64_e32 v[15:16], 3, v[17:18]
	v_mad_co_u64_u32 v[17:18], null, s9, v70, v[10:11]
	v_mov_b32_e32 v10, v14
	v_mad_co_u64_u32 v[18:19], null, s8, v77, 0
	v_add_co_u32 v8, s0, v20, v8
	s_wait_alu 0xf1ff
	v_add_co_ci_u32_e64 v9, s0, v21, v9, s0
	v_add_co_u32 v14, s0, v20, v15
	s_wait_alu 0xf1ff
	v_add_co_ci_u32_e64 v15, s0, v21, v16, s0
	v_mov_b32_e32 v12, v17
	v_mad_co_u64_u32 v[16:17], null, s9, v65, v[10:11]
	v_mov_b32_e32 v10, v19
	s_clause 0x3
	global_load_b64 v[58:59], v[4:5], off
	global_load_b64 v[50:51], v[6:7], off
	;; [unrolled: 1-line block ×4, first 2 shown]
	v_lshlrev_b64_e32 v[4:5], 3, v[11:12]
	v_add_nc_u32_e32 v24, 0x510, v78
	v_add_nc_u32_e32 v29, 0x7e9, v78
	v_mad_co_u64_u32 v[6:7], null, s9, v77, v[10:11]
	v_mov_b32_e32 v14, v16
	v_add_co_u32 v4, s0, v20, v4
	s_wait_alu 0xf1ff
	v_add_co_ci_u32_e64 v5, s0, v21, v5, s0
	s_delay_alu instid0(VALU_DEP_3)
	v_lshlrev_b64_e32 v[8:9], 3, v[13:14]
	v_mad_co_u64_u32 v[13:14], null, s8, v81, 0
	v_mov_b32_e32 v7, v23
	v_mov_b32_e32 v19, v6
	v_mad_co_u64_u32 v[84:85], null, s8, v83, 0
	v_add_co_u32 v6, s0, v20, v8
	s_delay_alu instid0(VALU_DEP_4)
	v_mad_co_u64_u32 v[10:11], null, s9, v68, v[7:8]
	v_mad_co_u64_u32 v[11:12], null, s8, v64, 0
	s_wait_alu 0xf1ff
	v_add_co_ci_u32_e64 v7, s0, v21, v9, s0
	v_lshlrev_b64_e32 v[8:9], 3, v[18:19]
	v_add_nc_u32_e32 v25, 0x603, v78
	v_mov_b32_e32 v23, v10
	v_mad_co_u64_u32 v[88:89], null, s8, v73, 0
	v_mov_b32_e32 v10, v12
	v_add_co_u32 v8, s0, v20, v8
	s_delay_alu instid0(VALU_DEP_4) | instskip(SKIP_4) | instid1(VALU_DEP_4)
	v_lshlrev_b64_e32 v[15:16], 3, v[22:23]
	s_wait_alu 0xf1ff
	v_add_co_ci_u32_e64 v9, s0, v21, v9, s0
	v_mad_co_u64_u32 v[17:18], null, s9, v64, v[10:11]
	v_mov_b32_e32 v10, v14
	v_add_co_u32 v14, s0, v20, v15
	v_mad_co_u64_u32 v[18:19], null, s8, v74, 0
	s_wait_alu 0xf1ff
	v_add_co_ci_u32_e64 v15, s0, v21, v16, s0
	v_mov_b32_e32 v12, v17
	v_mad_co_u64_u32 v[16:17], null, s9, v81, v[10:11]
	v_mad_co_u64_u32 v[22:23], null, s8, v24, 0
	v_mov_b32_e32 v10, v19
	s_clause 0x3
	global_load_b64 v[60:61], v[4:5], off
	global_load_b64 v[54:55], v[6:7], off
	;; [unrolled: 1-line block ×4, first 2 shown]
	v_lshlrev_b64_e32 v[8:9], 3, v[11:12]
	v_add_nc_u32_e32 v30, 0x8dc, v78
	v_mov_b32_e32 v14, v16
	v_mad_co_u64_u32 v[10:11], null, s9, v74, v[10:11]
	v_mov_b32_e32 v11, v23
	v_mad_co_u64_u32 v[16:17], null, s8, v25, 0
	s_delay_alu instid0(VALU_DEP_4) | instskip(SKIP_4) | instid1(VALU_DEP_4)
	v_lshlrev_b64_e32 v[12:13], 3, v[13:14]
	v_add_co_u32 v8, s0, v20, v8
	v_mov_b32_e32 v19, v10
	s_wait_alu 0xf1ff
	v_add_co_ci_u32_e64 v9, s0, v21, v9, s0
	v_mad_co_u64_u32 v[14:15], null, s9, v24, v[11:12]
	v_add_co_u32 v10, s0, v20, v12
	s_wait_alu 0xf1ff
	v_add_co_ci_u32_e64 v11, s0, v21, v13, s0
	v_mad_co_u64_u32 v[33:34], null, s8, v82, 0
	s_delay_alu instid0(VALU_DEP_4) | instskip(SKIP_2) | instid1(VALU_DEP_3)
	v_dual_mov_b32 v23, v14 :: v_dual_mov_b32 v14, v17
	v_lshlrev_b64_e32 v[12:13], 3, v[18:19]
	v_mad_co_u64_u32 v[18:19], null, s8, v75, 0
	v_lshlrev_b64_e32 v[22:23], 3, v[22:23]
	s_delay_alu instid0(VALU_DEP_4)
	v_mad_co_u64_u32 v[14:15], null, s9, v25, v[14:15]
	v_mad_co_u64_u32 v[24:25], null, s8, v29, 0
	v_add_co_u32 v12, s0, v20, v12
	v_mov_b32_e32 v15, v19
	s_wait_alu 0xf1ff
	v_add_co_ci_u32_e64 v13, s0, v21, v13, s0
	v_mov_b32_e32 v17, v14
	v_add_co_u32 v22, s0, v20, v22
	v_mad_co_u64_u32 v[26:27], null, s9, v75, v[15:16]
	v_mad_co_u64_u32 v[27:28], null, s8, v30, 0
	s_wait_alu 0xf1ff
	v_add_co_ci_u32_e64 v23, s0, v21, v23, s0
	s_clause 0x3
	global_load_b64 v[8:9], v[8:9], off
	global_load_b64 v[44:45], v[10:11], off
	;; [unrolled: 1-line block ×4, first 2 shown]
	v_lshlrev_b64_e32 v[10:11], 3, v[16:17]
	v_mov_b32_e32 v19, v26
	v_mad_co_u64_u32 v[16:17], null, s9, v29, v[25:26]
	v_mov_b32_e32 v17, v28
	v_mad_co_u64_u32 v[22:23], null, s8, v76, 0
	s_delay_alu instid0(VALU_DEP_4) | instskip(SKIP_4) | instid1(VALU_DEP_4)
	v_lshlrev_b64_e32 v[18:19], 3, v[18:19]
	v_add_co_u32 v10, s0, v20, v10
	v_mov_b32_e32 v25, v16
	s_wait_alu 0xf1ff
	v_add_co_ci_u32_e64 v11, s0, v21, v11, s0
	v_mad_co_u64_u32 v[16:17], null, s9, v30, v[17:18]
	v_mov_b32_e32 v17, v23
	v_mad_co_u64_u32 v[29:30], null, s8, v69, 0
	v_add_co_u32 v18, s0, v20, v18
	v_lshlrev_b64_e32 v[23:24], 3, v[24:25]
	v_mov_b32_e32 v28, v16
	v_mad_co_u64_u32 v[25:26], null, s8, v63, 0
	s_delay_alu instid0(VALU_DEP_4) | instskip(SKIP_4) | instid1(VALU_DEP_4)
	v_mad_co_u64_u32 v[16:17], null, s9, v76, v[17:18]
	v_dual_mov_b32 v17, v30 :: v_dual_add_nc_u32 v96, 0x83a, v78
	s_wait_alu 0xf1ff
	v_add_co_ci_u32_e64 v19, s0, v21, v19, s0
	v_add_co_u32 v31, s0, v20, v23
	v_mov_b32_e32 v23, v16
	v_mad_co_u64_u32 v[16:17], null, s9, v69, v[17:18]
	v_mov_b32_e32 v17, v26
	v_mad_co_u64_u32 v[35:36], null, s8, v71, 0
	v_lshlrev_b64_e32 v[27:28], 3, v[27:28]
	v_mad_co_u64_u32 v[37:38], null, s8, v66, 0
	v_mov_b32_e32 v30, v16
	v_mad_co_u64_u32 v[16:17], null, s9, v63, v[17:18]
	v_mov_b32_e32 v17, v34
	v_lshlrev_b64_e32 v[22:23], 3, v[22:23]
	s_wait_alu 0xf1ff
	v_add_co_ci_u32_e64 v32, s0, v21, v24, s0
	v_add_co_u32 v27, s0, v20, v27
	v_mov_b32_e32 v26, v16
	v_mad_co_u64_u32 v[16:17], null, s9, v82, v[17:18]
	v_mov_b32_e32 v17, v36
	v_lshlrev_b64_e32 v[29:30], 3, v[29:30]
	s_wait_alu 0xf1ff
	v_add_co_ci_u32_e64 v28, s0, v21, v28, s0
	v_add_co_u32 v22, s0, v20, v22
	v_mov_b32_e32 v34, v16
	v_mad_co_u64_u32 v[16:17], null, s9, v71, v[17:18]
	v_mov_b32_e32 v17, v38
	s_wait_alu 0xf1ff
	v_add_co_ci_u32_e64 v23, s0, v21, v23, s0
	v_lshlrev_b64_e32 v[24:25], 3, v[25:26]
	v_add_co_u32 v40, s0, v20, v29
	s_wait_alu 0xf1ff
	v_add_co_ci_u32_e64 v41, s0, v21, v30, s0
	v_lshlrev_b64_e32 v[29:30], 3, v[33:34]
	v_mad_co_u64_u32 v[33:34], null, s9, v66, v[17:18]
	v_mov_b32_e32 v36, v16
	v_add_co_u32 v24, s0, v20, v24
	v_mov_b32_e32 v26, v85
	s_wait_alu 0xf1ff
	v_add_co_ci_u32_e64 v25, s0, v21, v25, s0
	v_add_co_u32 v86, s0, v20, v29
	v_lshlrev_b64_e32 v[16:17], 3, v[35:36]
	s_wait_alu 0xf1ff
	v_add_co_ci_u32_e64 v87, s0, v21, v30, s0
	v_mad_co_u64_u32 v[29:30], null, s9, v83, v[26:27]
	v_mov_b32_e32 v38, v33
	s_delay_alu instid0(VALU_DEP_4) | instskip(SKIP_2) | instid1(VALU_DEP_3)
	v_add_co_u32 v90, s0, v20, v16
	s_wait_alu 0xf1ff
	v_add_co_ci_u32_e64 v91, s0, v21, v17, s0
	v_lshlrev_b64_e32 v[16:17], 3, v[37:38]
	v_mad_co_u64_u32 v[36:37], null, s8, v96, 0
	v_mov_b32_e32 v85, v29
	v_dual_mov_b32 v26, v89 :: v_dual_add_nc_u32 v29, 0x92d, v78
	s_delay_alu instid0(VALU_DEP_4) | instskip(SKIP_2) | instid1(VALU_DEP_3)
	v_add_co_u32 v92, s0, v20, v16
	s_wait_alu 0xf1ff
	v_add_co_ci_u32_e64 v93, s0, v21, v17, s0
	v_mad_co_u64_u32 v[94:95], null, s8, v29, 0
	v_mad_co_u64_u32 v[16:17], null, s9, v73, v[26:27]
	v_mov_b32_e32 v17, v37
	s_clause 0x3
	global_load_b64 v[34:35], v[10:11], off
	global_load_b64 v[38:39], v[18:19], off
	;; [unrolled: 1-line block ×4, first 2 shown]
	v_mad_co_u64_u32 v[26:27], null, s9, v96, v[17:18]
	v_mov_b32_e32 v27, v95
	v_mov_b32_e32 v89, v16
	s_clause 0x3
	global_load_b64 v[10:11], v[22:23], off
	global_load_b64 v[16:17], v[40:41], off
	;; [unrolled: 1-line block ×4, first 2 shown]
	v_lshlrev_b64_e32 v[22:23], 3, v[84:85]
	v_mad_co_u64_u32 v[24:25], null, s9, v29, v[27:28]
	v_lshlrev_b64_e32 v[27:28], 3, v[88:89]
	v_mov_b32_e32 v37, v26
	s_delay_alu instid0(VALU_DEP_4)
	v_add_co_u32 v22, s0, v20, v22
	s_wait_alu 0xf1ff
	v_add_co_ci_u32_e64 v23, s0, v21, v23, s0
	v_mov_b32_e32 v95, v24
	v_lshlrev_b64_e32 v[25:26], 3, v[36:37]
	v_add_co_u32 v84, s0, v20, v27
	s_wait_alu 0xf1ff
	v_add_co_ci_u32_e64 v85, s0, v21, v28, s0
	v_lshlrev_b64_e32 v[27:28], 3, v[94:95]
	s_delay_alu instid0(VALU_DEP_4) | instskip(SKIP_3) | instid1(VALU_DEP_4)
	v_add_co_u32 v24, s0, v20, v25
	s_wait_alu 0xf1ff
	v_add_co_ci_u32_e64 v25, s0, v21, v26, s0
	v_mov_b32_e32 v89, v67
	v_add_co_u32 v86, s0, v20, v27
	s_wait_alu 0xf1ff
	v_add_co_ci_u32_e64 v87, s0, v21, v28, s0
	s_clause 0x5
	global_load_b64 v[26:27], v[90:91], off
	global_load_b64 v[36:37], v[92:93], off
	;; [unrolled: 1-line block ×6, first 2 shown]
	v_mov_b32_e32 v84, v76
	v_dual_mov_b32 v92, v62 :: v_dual_mov_b32 v91, v63
	v_mov_b32_e32 v90, v64
	v_dual_mov_b32 v88, v69 :: v_dual_mov_b32 v87, v68
	v_dual_mov_b32 v86, v72 :: v_dual_mov_b32 v85, v77
.LBB0_13:
	s_or_b32 exec_lo, exec_lo, s1
	s_wait_loadcnt 0x17
	v_dual_add_f32 v93, v56, v58 :: v_dual_sub_f32 v96, v59, v57
	s_wait_loadcnt 0x15
	v_dual_add_f32 v94, v52, v2 :: v_dual_sub_f32 v95, v53, v61
	v_dual_sub_f32 v97, v52, v58 :: v_dual_sub_f32 v100, v58, v52
	s_delay_alu instid0(VALU_DEP_3) | instskip(SKIP_1) | instid1(VALU_DEP_4)
	v_fma_f32 v93, -0.5, v93, v2
	v_sub_f32_e32 v98, v60, v56
	v_dual_add_f32 v99, v60, v52 :: v_dual_add_f32 v94, v58, v94
	s_wait_loadcnt 0x7
	s_delay_alu instid0(VALU_DEP_3) | instskip(NEXT) | instid1(VALU_DEP_2)
	v_dual_add_f32 v104, v18, v10 :: v_dual_fmamk_f32 v101, v95, 0xbf737871, v93
	v_dual_add_f32 v97, v98, v97 :: v_dual_fmac_f32 v2, -0.5, v99
	s_delay_alu instid0(VALU_DEP_3) | instskip(NEXT) | instid1(VALU_DEP_3)
	v_dual_add_f32 v94, v56, v94 :: v_dual_fmac_f32 v93, 0x3f737871, v95
	v_dual_fmac_f32 v101, 0xbf167918, v96 :: v_dual_add_f32 v102, v53, v3
	s_delay_alu instid0(VALU_DEP_3) | instskip(NEXT) | instid1(VALU_DEP_3)
	v_fmamk_f32 v99, v96, 0x3f737871, v2
	v_add_f32_e32 v94, v60, v94
	s_delay_alu instid0(VALU_DEP_3) | instskip(SKIP_3) | instid1(VALU_DEP_4)
	v_dual_sub_f32 v98, v56, v60 :: v_dual_fmac_f32 v101, 0x3e9e377a, v97
	v_fmac_f32_e32 v93, 0x3f167918, v96
	v_add_f32_e32 v103, v57, v59
	v_dual_fmac_f32 v99, 0xbf167918, v95 :: v_dual_sub_f32 v52, v52, v60
	v_add_f32_e32 v98, v98, v100
	v_sub_f32_e32 v100, v61, v57
	v_fmac_f32_e32 v2, 0xbf737871, v96
	v_add_f32_e32 v96, v59, v102
	v_fma_f32 v116, -0.5, v103, v3
	v_fmac_f32_e32 v99, 0x3e9e377a, v98
	v_fmac_f32_e32 v93, 0x3e9e377a, v97
	s_delay_alu instid0(VALU_DEP_4) | instskip(SKIP_3) | instid1(VALU_DEP_4)
	v_dual_fmac_f32 v2, 0x3f167918, v95 :: v_dual_add_f32 v95, v57, v96
	v_add_f32_e32 v96, v61, v53
	v_dual_fmamk_f32 v60, v52, 0x3f737871, v116 :: v_dual_sub_f32 v97, v58, v56
	v_sub_f32_e32 v58, v53, v59
	v_dual_fmac_f32 v2, 0x3e9e377a, v98 :: v_dual_sub_f32 v53, v59, v53
	s_delay_alu instid0(VALU_DEP_4) | instskip(SKIP_1) | instid1(VALU_DEP_4)
	v_dual_fmac_f32 v3, -0.5, v96 :: v_dual_add_f32 v56, v61, v95
	v_add_f32_e32 v59, v48, v50
	v_dual_add_f32 v95, v100, v58 :: v_dual_fmac_f32 v116, 0xbf737871, v52
	v_sub_f32_e32 v57, v57, v61
	s_delay_alu instid0(VALU_DEP_4) | instskip(SKIP_3) | instid1(VALU_DEP_4)
	v_dual_fmamk_f32 v58, v97, 0xbf737871, v3 :: v_dual_sub_f32 v61, v47, v55
	v_fmac_f32_e32 v60, 0x3f167918, v97
	v_dual_fmac_f32 v3, 0x3f737871, v97 :: v_dual_sub_f32 v96, v46, v50
	v_fmac_f32_e32 v116, 0xbf167918, v97
	v_dual_fmac_f32 v58, 0x3f167918, v52 :: v_dual_add_f32 v53, v57, v53
	v_add_f32_e32 v57, v46, v42
	v_fma_f32 v59, -0.5, v59, v42
	v_fmac_f32_e32 v60, 0x3e9e377a, v95
	v_fmac_f32_e32 v3, 0xbf167918, v52
	v_dual_fmac_f32 v116, 0x3e9e377a, v95 :: v_dual_sub_f32 v97, v54, v48
	s_delay_alu instid0(VALU_DEP_4) | instskip(SKIP_2) | instid1(VALU_DEP_3)
	v_dual_add_f32 v52, v50, v57 :: v_dual_fmamk_f32 v57, v61, 0xbf737871, v59
	v_sub_f32_e32 v95, v51, v49
	v_dual_fmac_f32 v59, 0x3f737871, v61 :: v_dual_add_f32 v98, v54, v46
	v_add_f32_e32 v52, v48, v52
	s_delay_alu instid0(VALU_DEP_3) | instskip(NEXT) | instid1(VALU_DEP_3)
	v_dual_add_f32 v96, v97, v96 :: v_dual_fmac_f32 v57, 0xbf167918, v95
	v_fmac_f32_e32 v59, 0x3f167918, v95
	s_delay_alu instid0(VALU_DEP_4) | instskip(NEXT) | instid1(VALU_DEP_3)
	v_dual_fmac_f32 v3, 0x3e9e377a, v53 :: v_dual_fmac_f32 v42, -0.5, v98
	v_dual_fmac_f32 v58, 0x3e9e377a, v53 :: v_dual_fmac_f32 v57, 0x3e9e377a, v96
	v_dual_add_f32 v52, v54, v52 :: v_dual_add_f32 v53, v49, v51
	s_delay_alu instid0(VALU_DEP_4) | instskip(NEXT) | instid1(VALU_DEP_4)
	v_dual_fmac_f32 v59, 0x3e9e377a, v96 :: v_dual_sub_f32 v98, v48, v54
	v_dual_fmamk_f32 v96, v95, 0x3f737871, v42 :: v_dual_sub_f32 v97, v50, v46
	v_fmac_f32_e32 v42, 0xbf737871, v95
	s_delay_alu instid0(VALU_DEP_4) | instskip(SKIP_1) | instid1(VALU_DEP_4)
	v_fma_f32 v53, -0.5, v53, v43
	v_sub_f32_e32 v46, v46, v54
	v_fmac_f32_e32 v96, 0xbf167918, v61
	v_sub_f32_e32 v48, v50, v48
	v_dual_fmac_f32 v42, 0x3f167918, v61 :: v_dual_add_f32 v61, v55, v47
	s_delay_alu instid0(VALU_DEP_4)
	v_dual_fmamk_f32 v95, v46, 0x3f737871, v53 :: v_dual_add_f32 v50, v47, v43
	v_cmp_gt_u32_e64 s0, 9, v78
	s_wait_loadcnt 0x0
	v_sub_f32_e32 v105, v28, v24
	v_fmac_f32_e32 v43, -0.5, v61
	v_sub_f32_e32 v61, v55, v49
	v_dual_add_f32 v54, v98, v97 :: v_dual_fmac_f32 v95, 0x3f167918, v48
	s_delay_alu instid0(VALU_DEP_3) | instskip(SKIP_1) | instid1(VALU_DEP_3)
	v_dual_sub_f32 v98, v49, v55 :: v_dual_fmamk_f32 v97, v48, 0xbf737871, v43
	v_fmac_f32_e32 v43, 0x3f737871, v48
	v_fmac_f32_e32 v96, 0x3e9e377a, v54
	s_delay_alu instid0(VALU_DEP_3) | instskip(SKIP_3) | instid1(VALU_DEP_1)
	v_fmac_f32_e32 v97, 0x3f167918, v46
	v_fmac_f32_e32 v42, 0x3e9e377a, v54
	v_sub_f32_e32 v54, v47, v51
	v_sub_f32_e32 v47, v51, v47
	v_add_f32_e32 v47, v98, v47
	s_delay_alu instid0(VALU_DEP_1) | instskip(NEXT) | instid1(VALU_DEP_1)
	v_fmac_f32_e32 v97, 0x3e9e377a, v47
	v_dual_fmac_f32 v53, 0xbf737871, v46 :: v_dual_mul_f32 v98, 0xbf737871, v97
	s_delay_alu instid0(VALU_DEP_1) | instskip(NEXT) | instid1(VALU_DEP_1)
	v_dual_add_f32 v54, v61, v54 :: v_dual_fmac_f32 v53, 0xbf167918, v48
	v_dual_fmac_f32 v98, 0x3e9e377a, v96 :: v_dual_fmac_f32 v95, 0x3e9e377a, v54
	s_delay_alu instid0(VALU_DEP_2) | instskip(SKIP_1) | instid1(VALU_DEP_3)
	v_fmac_f32_e32 v53, 0x3e9e377a, v54
	v_fmac_f32_e32 v43, 0xbf167918, v46
	v_dual_add_f32 v48, v99, v98 :: v_dual_mul_f32 v61, 0xbf167918, v95
	s_delay_alu instid0(VALU_DEP_3) | instskip(NEXT) | instid1(VALU_DEP_3)
	v_mul_f32_e32 v102, 0xbf167918, v53
	v_dual_add_f32 v46, v51, v50 :: v_dual_fmac_f32 v43, 0x3e9e377a, v47
	v_sub_f32_e32 v51, v94, v52
	s_delay_alu instid0(VALU_DEP_4) | instskip(NEXT) | instid1(VALU_DEP_4)
	v_fmac_f32_e32 v61, 0x3f4f1bbd, v57
	v_fmac_f32_e32 v102, 0xbf4f1bbd, v59
	s_delay_alu instid0(VALU_DEP_4) | instskip(SKIP_3) | instid1(VALU_DEP_4)
	v_add_f32_e32 v46, v49, v46
	v_mul_f32_e32 v100, 0xbf737871, v43
	v_mul_f32_e32 v117, 0xbe9e377a, v43
	v_add_f32_e32 v47, v101, v61
	v_dual_add_f32 v43, v34, v12 :: v_dual_add_f32 v54, v55, v46
	s_delay_alu instid0(VALU_DEP_4)
	v_fmac_f32_e32 v100, 0xbe9e377a, v42
	v_add_f32_e32 v46, v52, v94
	v_sub_f32_e32 v94, v9, v33
	v_mul_f32_e32 v118, 0xbf4f1bbd, v53
	v_mul_f32_e32 v55, 0x3f167918, v57
	v_dual_mul_f32 v57, 0x3f737871, v96 :: v_dual_add_f32 v50, v93, v102
	v_fma_f32 v103, -0.5, v43, v4
	s_delay_alu instid0(VALU_DEP_4) | instskip(SKIP_4) | instid1(VALU_DEP_4)
	v_dual_fmac_f32 v118, 0x3f167918, v59 :: v_dual_sub_f32 v53, v99, v98
	v_add_f32_e32 v59, v8, v4
	v_add_f32_e32 v49, v2, v100
	v_fmac_f32_e32 v57, 0x3e9e377a, v97
	v_dual_fmac_f32 v117, 0x3f737871, v42 :: v_dual_sub_f32 v42, v2, v100
	v_dual_add_f32 v2, v12, v59 :: v_dual_fmamk_f32 v59, v94, 0xbf737871, v103
	v_dual_add_f32 v96, v32, v8 :: v_dual_fmac_f32 v55, 0x3f4f1bbd, v95
	v_sub_f32_e32 v52, v101, v61
	s_delay_alu instid0(VALU_DEP_3) | instskip(NEXT) | instid1(VALU_DEP_3)
	v_dual_sub_f32 v61, v13, v35 :: v_dual_add_f32 v2, v34, v2
	v_dual_sub_f32 v95, v32, v34 :: v_dual_fmac_f32 v4, -0.5, v96
	v_sub_f32_e32 v43, v8, v12
	v_dual_fmac_f32 v103, 0x3f737871, v94 :: v_dual_sub_f32 v96, v34, v32
	s_delay_alu instid0(VALU_DEP_3) | instskip(SKIP_1) | instid1(VALU_DEP_4)
	v_dual_sub_f32 v99, v30, v38 :: v_dual_fmamk_f32 v98, v61, 0x3f737871, v4
	v_fmac_f32_e32 v59, 0xbf167918, v61
	v_dual_add_f32 v95, v95, v43 :: v_dual_fmac_f32 v4, 0xbf737871, v61
	s_delay_alu instid0(VALU_DEP_4) | instskip(NEXT) | instid1(VALU_DEP_4)
	v_fmac_f32_e32 v103, 0x3f167918, v61
	v_fmac_f32_e32 v98, 0xbf167918, v94
	v_add_f32_e32 v97, v44, v6
	v_sub_f32_e32 v43, v93, v102
	v_fmac_f32_e32 v4, 0x3f167918, v94
	v_dual_add_f32 v94, v30, v44 :: v_dual_fmac_f32 v59, 0x3e9e377a, v95
	s_delay_alu instid0(VALU_DEP_4) | instskip(SKIP_4) | instid1(VALU_DEP_4)
	v_add_f32_e32 v61, v14, v97
	v_sub_f32_e32 v97, v44, v14
	v_add_f32_e32 v2, v32, v2
	v_sub_f32_e32 v102, v19, v21
	v_dual_add_f32 v126, v54, v56 :: v_dual_sub_f32 v133, v56, v54
	v_add_f32_e32 v97, v99, v97
	v_fmac_f32_e32 v103, 0x3e9e377a, v95
	v_sub_f32_e32 v95, v12, v8
	v_add_f32_e32 v127, v60, v55
	v_sub_f32_e32 v129, v58, v57
	v_add_f32_e32 v131, v3, v117
	;; [unrolled: 2-line block ×3, first 2 shown]
	v_dual_sub_f32 v96, v15, v39 :: v_dual_add_f32 v93, v38, v14
	s_delay_alu instid0(VALU_DEP_1) | instskip(SKIP_4) | instid1(VALU_DEP_4)
	v_fma_f32 v119, -0.5, v93, v6
	v_fmac_f32_e32 v6, -0.5, v94
	v_add_f32_e32 v94, v39, v15
	v_sub_f32_e32 v93, v45, v31
	v_sub_f32_e32 v99, v38, v30
	v_fmamk_f32 v121, v96, 0x3f737871, v6
	s_delay_alu instid0(VALU_DEP_4) | instskip(SKIP_4) | instid1(VALU_DEP_4)
	v_fma_f32 v122, -0.5, v94, v7
	v_add_f32_e32 v94, v31, v45
	v_fmac_f32_e32 v98, 0x3e9e377a, v95
	v_dual_fmac_f32 v4, 0x3e9e377a, v95 :: v_dual_sub_f32 v95, v14, v44
	v_dual_sub_f32 v14, v14, v38 :: v_dual_add_f32 v125, v45, v7
	v_dual_fmac_f32 v7, -0.5, v94 :: v_dual_fmac_f32 v6, 0xbf737871, v96
	v_dual_add_f32 v61, v38, v61 :: v_dual_sub_f32 v38, v45, v15
	v_sub_f32_e32 v94, v39, v31
	s_delay_alu instid0(VALU_DEP_3) | instskip(NEXT) | instid1(VALU_DEP_3)
	v_fmamk_f32 v124, v14, 0xbf737871, v7
	v_dual_add_f32 v61, v30, v61 :: v_dual_sub_f32 v30, v44, v30
	v_fmamk_f32 v120, v93, 0xbf737871, v119
	v_fmac_f32_e32 v6, 0x3f167918, v93
	s_delay_alu instid0(VALU_DEP_3) | instskip(NEXT) | instid1(VALU_DEP_3)
	v_fmamk_f32 v123, v30, 0x3f737871, v122
	v_fmac_f32_e32 v120, 0xbf167918, v96
	v_fmac_f32_e32 v124, 0x3f167918, v30
	v_add_f32_e32 v44, v99, v95
	v_dual_sub_f32 v95, v31, v39 :: v_dual_fmac_f32 v122, 0xbf737871, v30
	v_sub_f32_e32 v45, v15, v45
	v_fmac_f32_e32 v120, 0x3e9e377a, v97
	s_delay_alu instid0(VALU_DEP_3) | instskip(NEXT) | instid1(VALU_DEP_3)
	v_dual_fmac_f32 v119, 0x3f737871, v93 :: v_dual_add_f32 v38, v95, v38
	v_dual_fmac_f32 v122, 0xbf167918, v14 :: v_dual_add_f32 v45, v94, v45
	v_fmac_f32_e32 v6, 0x3e9e377a, v44
	s_delay_alu instid0(VALU_DEP_3) | instskip(SKIP_1) | instid1(VALU_DEP_4)
	v_fmac_f32_e32 v119, 0x3f167918, v96
	v_mul_u32_u24_e32 v96, 10, v78
	v_fmac_f32_e32 v122, 0x3e9e377a, v38
	v_fmac_f32_e32 v124, 0x3e9e377a, v45
	;; [unrolled: 1-line block ×4, first 2 shown]
	v_add_f32_e32 v95, v22, v26
	v_lshl_add_u32 v134, v96, 2, 0
	s_delay_alu instid0(VALU_DEP_4)
	v_dual_sub_f32 v96, v2, v61 :: v_dual_fmac_f32 v7, 0xbf167918, v30
	ds_store_2addr_b64 v134, v[46:47], v[48:49] offset1:1
	ds_store_2addr_b64 v134, v[50:51], v[52:53] offset0:2 offset1:3
	v_fma_f32 v101, -0.5, v95, v10
	v_fmac_f32_e32 v7, 0x3e9e377a, v45
	v_dual_add_f32 v15, v15, v125 :: v_dual_sub_f32 v12, v12, v34
	ds_store_b64 v134, v[42:43] offset:32
	v_mul_f32_e32 v99, 0xbf737871, v7
	v_add_f32_e32 v3, v39, v15
	s_delay_alu instid0(VALU_DEP_2) | instskip(SKIP_1) | instid1(VALU_DEP_3)
	v_fmac_f32_e32 v99, 0xbe9e377a, v6
	v_fmac_f32_e32 v123, 0x3f167918, v14
	v_dual_mul_f32 v14, 0xbf737871, v124 :: v_dual_add_f32 v3, v31, v3
	s_delay_alu instid0(VALU_DEP_2) | instskip(NEXT) | instid1(VALU_DEP_1)
	v_dual_add_f32 v94, v4, v99 :: v_dual_fmac_f32 v123, 0x3e9e377a, v38
	v_dual_fmac_f32 v121, 0xbf167918, v93 :: v_dual_mul_f32 v30, 0xbf167918, v123
	s_delay_alu instid0(VALU_DEP_1) | instskip(SKIP_1) | instid1(VALU_DEP_3)
	v_dual_fmac_f32 v121, 0x3e9e377a, v44 :: v_dual_add_f32 v44, v61, v2
	v_dual_fmamk_f32 v2, v102, 0xbf737871, v101 :: v_dual_sub_f32 v61, v20, v22
	v_fmac_f32_e32 v30, 0x3f4f1bbd, v120
	v_fmac_f32_e32 v101, 0x3f737871, v102
	s_delay_alu instid0(VALU_DEP_2) | instskip(SKIP_4) | instid1(VALU_DEP_3)
	v_dual_add_f32 v45, v59, v30 :: v_dual_fmac_f32 v14, 0x3e9e377a, v121
	v_sub_f32_e32 v97, v59, v30
	v_dual_sub_f32 v30, v27, v23 :: v_dual_sub_f32 v59, v18, v26
	v_mul_f32_e32 v38, 0xbf167918, v122
	v_dual_mul_f32 v34, 0xbe9e377a, v7 :: v_dual_sub_f32 v7, v35, v33
	v_dual_fmac_f32 v2, 0xbf167918, v30 :: v_dual_add_f32 v59, v61, v59
	v_add_f32_e32 v61, v24, v40
	v_add_f32_e32 v93, v98, v14
	v_sub_f32_e32 v98, v98, v14
	v_fmac_f32_e32 v101, 0x3f167918, v30
	v_add_f32_e32 v14, v20, v18
	v_fmac_f32_e32 v38, 0xbf4f1bbd, v119
	v_fmac_f32_e32 v2, 0x3e9e377a, v59
	;; [unrolled: 1-line block ×3, first 2 shown]
	s_delay_alu instid0(VALU_DEP_4) | instskip(NEXT) | instid1(VALU_DEP_4)
	v_dual_fmac_f32 v101, 0x3e9e377a, v59 :: v_dual_fmac_f32 v10, -0.5, v14
	v_add_f32_e32 v95, v103, v38
	v_sub_f32_e32 v100, v103, v38
	v_sub_f32_e32 v14, v26, v18
	v_dual_sub_f32 v38, v22, v20 :: v_dual_sub_f32 v99, v4, v99
	v_dual_add_f32 v103, v40, v16 :: v_dual_fmamk_f32 v4, v30, 0x3f737871, v10
	v_fmac_f32_e32 v10, 0xbf737871, v30
	v_add_f32_e32 v30, v28, v36
	s_delay_alu instid0(VALU_DEP_4) | instskip(SKIP_2) | instid1(VALU_DEP_4)
	v_add_f32_e32 v14, v38, v14
	v_sub_f32_e32 v38, v40, v36
	v_dual_sub_f32 v59, v24, v28 :: v_dual_fmac_f32 v4, 0xbf167918, v102
	v_fma_f32 v135, -0.5, v30, v16
	v_sub_f32_e32 v30, v41, v25
	v_dual_fmac_f32 v16, -0.5, v61 :: v_dual_sub_f32 v61, v36, v40
	v_sub_f32_e32 v8, v8, v32
	v_sub_f32_e32 v32, v33, v35
	s_delay_alu instid0(VALU_DEP_4)
	v_fmamk_f32 v136, v30, 0xbf737871, v135
	v_fmac_f32_e32 v135, 0x3f737871, v30
	v_dual_add_f32 v38, v59, v38 :: v_dual_add_f32 v59, v105, v61
	v_fmac_f32_e32 v10, 0x3f167918, v102
	v_sub_f32_e32 v102, v37, v29
	v_sub_f32_e32 v18, v18, v20
	v_lshl_add_u32 v105, v92, 2, 0
	s_delay_alu instid0(VALU_DEP_3) | instskip(SKIP_1) | instid1(VALU_DEP_2)
	v_fmamk_f32 v137, v102, 0x3f737871, v16
	v_fmac_f32_e32 v135, 0x3f167918, v102
	v_fmac_f32_e32 v137, 0xbf167918, v30
	s_delay_alu instid0(VALU_DEP_1) | instskip(SKIP_1) | instid1(VALU_DEP_4)
	v_dual_fmac_f32 v137, 0x3e9e377a, v59 :: v_dual_fmac_f32 v4, 0x3e9e377a, v14
	v_fmac_f32_e32 v10, 0x3e9e377a, v14
	v_dual_add_f32 v14, v29, v37 :: v_dual_fmac_f32 v135, 0x3e9e377a, v38
	s_delay_alu instid0(VALU_DEP_1)
	v_fma_f32 v139, -0.5, v14, v17
	v_sub_f32_e32 v14, v36, v28
	v_sub_f32_e32 v40, v40, v24
	v_fmac_f32_e32 v136, 0xbf167918, v102
	v_fmac_f32_e32 v16, 0xbf737871, v102
	v_add_f32_e32 v138, v41, v17
	v_lshl_add_u32 v102, v91, 2, 0
	v_fmamk_f32 v141, v40, 0x3f737871, v139
	v_fmac_f32_e32 v136, 0x3e9e377a, v38
	v_add_f32_e32 v38, v25, v41
	v_dual_sub_f32 v46, v25, v29 :: v_dual_fmac_f32 v139, 0xbf737871, v40
	v_fmac_f32_e32 v16, 0x3f167918, v30
	s_delay_alu instid0(VALU_DEP_3) | instskip(SKIP_1) | instid1(VALU_DEP_2)
	v_dual_sub_f32 v30, v41, v37 :: v_dual_fmac_f32 v17, -0.5, v38
	v_sub_f32_e32 v38, v37, v41
	v_dual_sub_f32 v41, v29, v25 :: v_dual_add_f32 v46, v46, v30
	s_delay_alu instid0(VALU_DEP_3) | instskip(SKIP_1) | instid1(VALU_DEP_3)
	v_fmamk_f32 v140, v14, 0xbf737871, v17
	v_fmac_f32_e32 v17, 0x3f737871, v14
	v_add_f32_e32 v30, v41, v38
	v_add_f32_e32 v31, v37, v138
	s_delay_alu instid0(VALU_DEP_3) | instskip(NEXT) | instid1(VALU_DEP_1)
	v_fmac_f32_e32 v17, 0xbf167918, v40
	v_dual_fmac_f32 v17, 0x3e9e377a, v30 :: v_dual_add_f32 v38, v26, v104
	v_dual_fmac_f32 v139, 0xbf167918, v14 :: v_dual_add_f32 v36, v36, v103
	v_fmac_f32_e32 v141, 0x3f167918, v14
	v_fmac_f32_e32 v16, 0x3e9e377a, v59
	s_delay_alu instid0(VALU_DEP_4) | instskip(NEXT) | instid1(VALU_DEP_4)
	v_add_f32_e32 v38, v22, v38
	v_dual_fmac_f32 v139, 0x3e9e377a, v46 :: v_dual_add_f32 v28, v28, v36
	s_delay_alu instid0(VALU_DEP_4) | instskip(SKIP_1) | instid1(VALU_DEP_4)
	v_fmac_f32_e32 v141, 0x3e9e377a, v46
	v_mul_i32_i24_e32 v14, 10, v85
	v_add_f32_e32 v38, v20, v38
	s_delay_alu instid0(VALU_DEP_4) | instskip(SKIP_3) | instid1(VALU_DEP_4)
	v_mul_f32_e32 v50, 0xbf167918, v139
	v_sub_f32_e32 v22, v26, v22
	v_mul_f32_e32 v36, 0xbf167918, v141
	v_sub_f32_e32 v26, v27, v19
	v_fmac_f32_e32 v50, 0xbf4f1bbd, v135
	s_delay_alu instid0(VALU_DEP_1) | instskip(SKIP_1) | instid1(VALU_DEP_1)
	v_dual_fmac_f32 v36, 0x3f4f1bbd, v136 :: v_dual_sub_f32 v51, v101, v50
	v_fmac_f32_e32 v140, 0x3f167918, v40
	v_dual_add_f32 v41, v2, v36 :: v_dual_fmac_f32 v140, 0x3e9e377a, v30
	v_lshl_add_u32 v30, v14, 2, 0
	v_add_f32_e32 v14, v24, v28
	s_delay_alu instid0(VALU_DEP_3) | instskip(NEXT) | instid1(VALU_DEP_3)
	v_mul_f32_e32 v24, 0xbf737871, v140
	v_mad_i32_i24 v109, 0xffffffdc, v85, v30
	s_delay_alu instid0(VALU_DEP_2) | instskip(NEXT) | instid1(VALU_DEP_1)
	v_fmac_f32_e32 v24, 0x3e9e377a, v137
	v_sub_f32_e32 v43, v4, v24
	v_add_f32_e32 v46, v4, v24
	v_add_f32_e32 v24, v9, v5
	s_delay_alu instid0(VALU_DEP_1) | instskip(NEXT) | instid1(VALU_DEP_1)
	v_dual_add_f32 v15, v13, v24 :: v_dual_add_f32 v24, v35, v13
	v_dual_add_f32 v15, v35, v15 :: v_dual_mul_f32 v28, 0xbf737871, v17
	s_delay_alu instid0(VALU_DEP_2) | instskip(SKIP_2) | instid1(VALU_DEP_4)
	v_fma_f32 v24, -0.5, v24, v5
	v_add_f32_e32 v48, v101, v50
	v_mul_f32_e32 v35, 0xbf4f1bbd, v122
	v_dual_add_f32 v15, v33, v15 :: v_dual_fmac_f32 v28, 0xbe9e377a, v16
	v_lshl_add_u32 v101, v90, 2, 0
	s_delay_alu instid0(VALU_DEP_3) | instskip(NEXT) | instid1(VALU_DEP_3)
	v_fmac_f32_e32 v35, 0x3f167918, v119
	v_add_f32_e32 v47, v10, v28
	v_sub_f32_e32 v50, v10, v28
	v_sub_f32_e32 v28, v9, v13
	;; [unrolled: 1-line block ×3, first 2 shown]
	v_dual_add_f32 v9, v33, v9 :: v_dual_add_f32 v40, v14, v38
	s_delay_alu instid0(VALU_DEP_3) | instskip(NEXT) | instid1(VALU_DEP_3)
	v_dual_sub_f32 v49, v38, v14 :: v_dual_add_f32 v6, v32, v28
	v_add_f32_e32 v7, v7, v13
	s_delay_alu instid0(VALU_DEP_3) | instskip(SKIP_3) | instid1(VALU_DEP_4)
	v_fmac_f32_e32 v5, -0.5, v9
	v_dual_add_f32 v130, v58, v57 :: v_dual_fmamk_f32 v9, v8, 0x3f737871, v24
	v_add_f32_e32 v132, v116, v118
	v_mad_i32_i24 v38, 0xffffffdc, v78, v134
	v_fmamk_f32 v28, v12, 0xbf737871, v5
	v_fmac_f32_e32 v5, 0x3f737871, v12
	v_sub_f32_e32 v42, v2, v36
	v_mul_i32_i24_e32 v2, 10, v84
	v_add_nc_u32_e32 v103, 0x1400, v38
	v_fmac_f32_e32 v28, 0x3f167918, v8
	v_dual_fmac_f32 v5, 0xbf167918, v8 :: v_dual_sub_f32 v118, v116, v118
	s_delay_alu instid0(VALU_DEP_4)
	v_lshl_add_u32 v36, v2, 2, 0
	ds_store_2addr_b64 v30, v[44:45], v[93:94] offset1:1
	ds_store_2addr_b64 v30, v[95:96], v[97:98] offset0:2 offset1:3
	ds_store_b64 v30, v[99:100] offset:32
	ds_store_2addr_b64 v36, v[40:41], v[46:47] offset1:1
	ds_store_2addr_b64 v36, v[48:49], v[42:43] offset0:2 offset1:3
	ds_store_b64 v36, v[50:51] offset:32
	v_fmac_f32_e32 v5, 0x3e9e377a, v7
	v_fmac_f32_e32 v28, 0x3e9e377a, v7
	v_dual_add_f32 v33, v3, v15 :: v_dual_add_nc_u32 v100, 0x1c00, v38
	v_add_nc_u32_e32 v104, 0x2000, v38
	s_delay_alu instid0(VALU_DEP_4)
	v_dual_add_f32 v7, v5, v34 :: v_dual_fmac_f32 v24, 0xbf737871, v8
	v_fmac_f32_e32 v9, 0x3f167918, v12
	v_mul_f32_e32 v32, 0x3f167918, v120
	v_dual_sub_f32 v8, v5, v34 :: v_dual_add_f32 v5, v19, v11
	v_sub_f32_e32 v120, v15, v3
	v_dual_add_f32 v3, v29, v31 :: v_dual_fmac_f32 v24, 0xbf167918, v12
	v_and_b32_e32 v31, 0xff, v78
	v_mul_f32_e32 v12, 0x3f737871, v121
	v_dual_fmac_f32 v32, 0x3f4f1bbd, v123 :: v_dual_add_f32 v5, v27, v5
	v_add_f32_e32 v15, v23, v27
	v_fmac_f32_e32 v9, 0x3e9e377a, v6
	v_dual_fmac_f32 v24, 0x3e9e377a, v6 :: v_dual_add_f32 v3, v25, v3
	v_fmac_f32_e32 v12, 0x3e9e377a, v124
	v_add_nc_u32_e32 v96, 0x1a00, v38
	s_delay_alu instid0(VALU_DEP_3) | instskip(SKIP_1) | instid1(VALU_DEP_4)
	v_dual_add_f32 v119, v24, v35 :: v_dual_add_nc_u32 v106, 0x1600, v38
	v_add_f32_e32 v34, v9, v32
	v_add_f32_e32 v6, v28, v12
	v_sub_f32_e32 v13, v28, v12
	v_dual_sub_f32 v12, v9, v32 :: v_dual_sub_f32 v9, v24, v35
	v_sub_f32_e32 v24, v19, v27
	v_add_f32_e32 v5, v23, v5
	v_fma_f32 v27, -0.5, v15, v11
	v_dual_sub_f32 v15, v21, v23 :: v_dual_sub_f32 v20, v23, v21
	v_add_f32_e32 v19, v21, v19
	s_delay_alu instid0(VALU_DEP_4) | instskip(NEXT) | instid1(VALU_DEP_4)
	v_add_f32_e32 v23, v21, v5
	v_fmamk_f32 v5, v18, 0x3f737871, v27
	v_fmac_f32_e32 v27, 0xbf737871, v18
	v_add_f32_e32 v15, v15, v24
	v_fmac_f32_e32 v11, -0.5, v19
	v_mul_f32_e32 v21, 0xbe9e377a, v17
	v_mul_lo_u16 v24, 0xcd, v31
	v_dual_fmac_f32 v27, 0xbf167918, v22 :: v_dual_sub_f32 v128, v60, v55
	v_add_nc_u32_e32 v107, 0x2200, v38
	s_delay_alu instid0(VALU_DEP_4) | instskip(SKIP_1) | instid1(VALU_DEP_4)
	v_fmac_f32_e32 v21, 0x3f737871, v16
	v_mad_i32_i24 v108, 0xffffffdc, v84, v36
	v_fmac_f32_e32 v27, 0x3e9e377a, v15
	v_fmac_f32_e32 v5, 0x3f167918, v22
	v_fmamk_f32 v19, v22, 0xbf737871, v11
	v_fmac_f32_e32 v11, 0x3f737871, v22
	v_mul_f32_e32 v22, 0xbf4f1bbd, v139
	v_lshl_add_u32 v60, v86, 2, 0
	v_fmac_f32_e32 v5, 0x3e9e377a, v15
	v_mul_f32_e32 v15, 0x3f167918, v136
	s_delay_alu instid0(VALU_DEP_4) | instskip(SKIP_2) | instid1(VALU_DEP_4)
	v_dual_fmac_f32 v19, 0x3f167918, v18 :: v_dual_fmac_f32 v22, 0x3f167918, v135
	v_and_b32_e32 v32, 0xff, v85
	v_lshl_add_u32 v94, v87, 2, 0
	v_dual_fmac_f32 v15, 0x3f4f1bbd, v141 :: v_dual_add_f32 v16, v20, v26
	v_fmac_f32_e32 v11, 0xbf167918, v18
	v_mul_f32_e32 v20, 0x3f737871, v137
	v_lshl_add_u32 v97, v88, 2, 0
	s_delay_alu instid0(VALU_DEP_4)
	v_sub_f32_e32 v17, v5, v15
	v_lshl_add_u32 v98, v89, 2, 0
	v_fmac_f32_e32 v11, 0x3e9e377a, v16
	v_dual_fmac_f32 v19, 0x3e9e377a, v16 :: v_dual_add_f32 v16, v5, v15
	v_lshrrev_b16 v5, 11, v24
	v_add_f32_e32 v15, v3, v23
	v_sub_f32_e32 v24, v23, v3
	v_dual_fmac_f32 v20, 0x3e9e377a, v140 :: v_dual_add_f32 v23, v27, v22
	s_delay_alu instid0(VALU_DEP_4)
	v_mul_lo_u16 v3, v5, 10
	global_wb scope:SCOPE_SE
	s_wait_dscnt 0x0
	s_barrier_signal -1
	s_barrier_wait -1
	global_inv scope:SCOPE_SE
	v_sub_nc_u16 v25, v78, v3
	v_sub_f32_e32 v18, v19, v20
	v_add_f32_e32 v19, v19, v20
	v_add_f32_e32 v20, v11, v21
	v_sub_f32_e32 v21, v11, v21
	v_mul_lo_u16 v11, 0xcd, v32
	v_add_nc_u32_e32 v61, 0xc00, v38
	v_add_nc_u32_e32 v93, 0x1800, v38
	ds_load_b32 v114, v109
	ds_load_b32 v112, v108
	v_add_nc_u32_e32 v95, 0xe00, v38
	v_add_nc_u32_e32 v99, 0x1000, v38
	ds_load_b32 v115, v38
	ds_load_b32 v113, v60
	;; [unrolled: 1-line block ×8, first 2 shown]
	ds_load_2addr_b32 v[58:59], v61 offset0:42 offset1:123
	ds_load_2addr_b32 v[56:57], v93 offset0:84 offset1:165
	;; [unrolled: 1-line block ×10, first 2 shown]
	global_wb scope:SCOPE_SE
	s_wait_dscnt 0x0
	s_barrier_signal -1
	s_barrier_wait -1
	global_inv scope:SCOPE_SE
	ds_store_2addr_b64 v134, v[126:127], v[130:131] offset1:1
	ds_store_2addr_b64 v134, v[132:133], v[128:129] offset0:2 offset1:3
	ds_store_b64 v134, v[117:118] offset:32
	ds_store_2addr_b64 v30, v[33:34], v[6:7] offset1:1
	ds_store_2addr_b64 v30, v[119:120], v[12:13] offset0:2 offset1:3
	v_and_b32_e32 v7, 0xff, v25
	v_lshrrev_b16 v3, 11, v11
	v_sub_f32_e32 v22, v27, v22
	ds_store_b64 v30, v[8:9] offset:32
	ds_store_2addr_b64 v36, v[15:16], v[19:20] offset1:1
	ds_store_2addr_b64 v36, v[23:24], v[17:18] offset0:2 offset1:3
	v_lshlrev_b32_e32 v11, 4, v7
	v_mul_lo_u16 v6, v3, 10
	ds_store_b64 v36, v[21:22] offset:32
	global_wb scope:SCOPE_SE
	s_wait_dscnt 0x0
	s_barrier_signal -1
	s_barrier_wait -1
	v_sub_nc_u16 v6, v85, v6
	global_inv scope:SCOPE_SE
	global_load_b128 v[116:119], v11, s[4:5]
	v_and_b32_e32 v26, 0xffff, v86
	v_and_b32_e32 v3, 0xffff, v3
	;; [unrolled: 1-line block ×3, first 2 shown]
	v_mul_lo_u16 v31, 0x89, v31
	v_mul_lo_u16 v32, 0x89, v32
	v_mul_u32_u24_e32 v12, 0xcccd, v26
	v_mul_u32_u24_e32 v3, 0x78, v3
	s_delay_alu instid0(VALU_DEP_2)
	v_lshrrev_b32_e32 v6, 19, v12
	v_lshlrev_b32_e32 v12, 4, v9
	global_load_b128 v[120:123], v12, s[4:5]
	v_and_b32_e32 v28, 0xff, v84
	v_mul_lo_u16 v11, v6, 10
	v_and_b32_e32 v29, 0xffff, v87
	v_and_b32_e32 v27, 0xffff, v88
	;; [unrolled: 1-line block ×3, first 2 shown]
	v_mul_lo_u16 v8, 0xcd, v28
	v_sub_nc_u16 v11, v86, v11
	v_mul_u32_u24_e32 v12, 0xcccd, v29
	v_and_b32_e32 v22, 0xffff, v90
	v_mul_u32_u24_e32 v6, 0x78, v6
	v_lshrrev_b16 v8, 11, v8
	s_delay_alu instid0(VALU_DEP_4) | instskip(NEXT) | instid1(VALU_DEP_4)
	v_lshrrev_b32_e32 v12, 19, v12
	v_mul_u32_u24_e32 v19, 0xcccd, v22
	s_delay_alu instid0(VALU_DEP_3) | instskip(NEXT) | instid1(VALU_DEP_3)
	v_mul_lo_u16 v13, v8, 10
	v_mul_lo_u16 v18, v12, 10
	s_delay_alu instid0(VALU_DEP_3) | instskip(NEXT) | instid1(VALU_DEP_3)
	v_lshrrev_b32_e32 v19, 19, v19
	v_sub_nc_u16 v13, v84, v13
	s_delay_alu instid0(VALU_DEP_2) | instskip(NEXT) | instid1(VALU_DEP_2)
	v_mul_lo_u16 v34, v19, 10
	v_and_b32_e32 v15, 0xff, v13
	v_and_b32_e32 v13, 0xffff, v11
	v_mul_u32_u24_e32 v11, 0xcccd, v27
	s_delay_alu instid0(VALU_DEP_3) | instskip(NEXT) | instid1(VALU_DEP_2)
	v_lshlrev_b32_e32 v16, 4, v15
	v_lshrrev_b32_e32 v11, 19, v11
	global_load_b128 v[126:129], v16, s[4:5]
	v_lshlrev_b32_e32 v17, 4, v13
	global_load_b128 v[132:135], v17, s[4:5]
	v_sub_nc_u16 v16, v87, v18
	v_mul_lo_u16 v18, v11, 10
	v_mul_u32_u24_e32 v17, 0xcccd, v24
	v_and_b32_e32 v25, 0xffff, v91
	v_and_b32_e32 v23, 0xffff, v92
	;; [unrolled: 1-line block ×3, first 2 shown]
	v_sub_nc_u16 v18, v88, v18
	v_lshrrev_b32_e32 v16, 19, v17
	s_delay_alu instid0(VALU_DEP_3) | instskip(NEXT) | instid1(VALU_DEP_3)
	v_lshlrev_b32_e32 v21, 4, v20
	v_and_b32_e32 v17, 0xffff, v18
	s_delay_alu instid0(VALU_DEP_3)
	v_mul_lo_u16 v18, v16, 10
	global_load_b128 v[136:139], v21, s[4:5]
	v_lshlrev_b32_e32 v33, 4, v17
	v_sub_nc_u16 v18, v89, v18
	global_load_b128 v[140:143], v33, s[4:5]
	v_mul_u32_u24_e32 v21, 0xcccd, v25
	v_and_b32_e32 v37, 0xffff, v18
	v_sub_nc_u16 v18, v90, v34
	v_mul_u32_u24_e32 v33, 0xcccd, v23
	s_delay_alu instid0(VALU_DEP_4) | instskip(NEXT) | instid1(VALU_DEP_4)
	v_lshrrev_b32_e32 v21, 19, v21
	v_lshlrev_b32_e32 v35, 4, v37
	s_delay_alu instid0(VALU_DEP_4) | instskip(NEXT) | instid1(VALU_DEP_4)
	v_and_b32_e32 v39, 0xffff, v18
	v_lshrrev_b32_e32 v18, 19, v33
	s_delay_alu instid0(VALU_DEP_4) | instskip(SKIP_3) | instid1(VALU_DEP_2)
	v_mul_lo_u16 v34, v21, 10
	global_load_b128 v[144:147], v35, s[4:5]
	v_sub_nc_u16 v33, v91, v34
	v_mul_lo_u16 v34, v18, 10
	v_and_b32_e32 v164, 0xffff, v33
	s_delay_alu instid0(VALU_DEP_2) | instskip(NEXT) | instid1(VALU_DEP_1)
	v_sub_nc_u16 v33, v92, v34
	v_and_b32_e32 v34, 0xffff, v33
	s_delay_alu instid0(VALU_DEP_1)
	v_lshlrev_b32_e32 v33, 4, v34
	global_load_b128 v[156:159], v33, s[4:5]
	v_lshlrev_b32_e32 v35, 4, v39
	global_load_b128 v[148:151], v35, s[4:5]
	v_lshlrev_b32_e32 v35, 4, v164
	global_load_b128 v[152:155], v35, s[4:5]
	ds_load_2addr_b32 v[124:125], v61 offset0:42 offset1:123
	ds_load_2addr_b32 v[130:131], v93 offset0:84 offset1:165
	ds_load_2addr_b32 v[160:161], v95 offset0:76 offset1:157
	ds_load_2addr_b32 v[162:163], v96 offset0:118 offset1:199
	s_wait_loadcnt_dscnt 0x903
	v_mul_f32_e32 v33, v124, v117
	v_mul_f32_e32 v117, v58, v117
	s_wait_dscnt 0x2
	v_mul_f32_e32 v35, v130, v119
	v_mul_f32_e32 v119, v56, v119
	v_fmac_f32_e32 v33, v58, v116
	v_fma_f32 v165, v124, v116, -v117
	s_delay_alu instid0(VALU_DEP_4) | instskip(NEXT) | instid1(VALU_DEP_4)
	v_fmac_f32_e32 v35, v56, v118
	v_fma_f32 v166, v130, v118, -v119
	ds_load_2addr_b32 v[118:119], v99 offset0:110 offset1:191
	s_wait_loadcnt 0x8
	v_mul_f32_e32 v116, v131, v123
	v_mul_f32_e32 v56, v57, v123
	ds_load_2addr_b32 v[123:124], v100 offset0:152 offset1:233
	v_mul_f32_e32 v58, v125, v121
	v_dual_mul_f32 v117, v59, v121 :: v_dual_fmac_f32 v116, v57, v122
	s_delay_alu instid0(VALU_DEP_2) | instskip(NEXT) | instid1(VALU_DEP_2)
	v_dual_fmac_f32 v58, v59, v120 :: v_dual_lshlrev_b32 v15, 2, v15
	v_fma_f32 v121, v125, v120, -v117
	s_wait_loadcnt_dscnt 0x703
	v_mul_f32_e32 v57, v160, v127
	v_mul_f32_e32 v59, v54, v127
	v_fma_f32 v127, v131, v122, -v56
	s_wait_dscnt 0x2
	v_mul_f32_e32 v122, v162, v129
	v_dual_mul_f32 v56, v52, v129 :: v_dual_fmac_f32 v57, v54, v126
	v_fma_f32 v131, v160, v126, -v59
	s_wait_loadcnt 0x6
	v_mul_f32_e32 v54, v161, v133
	v_fmac_f32_e32 v122, v52, v128
	v_mul_f32_e32 v52, v53, v135
	v_fma_f32 v59, v162, v128, -v56
	v_mul_f32_e32 v56, v163, v135
	v_fmac_f32_e32 v54, v55, v132
	ds_load_2addr_b32 v[125:126], v103 offset0:16 offset1:97
	v_fma_f32 v128, v163, v134, -v52
	v_dual_fmac_f32 v56, v53, v134 :: v_dual_and_b32 v5, 0xffff, v5
	ds_load_2addr_b32 v[134:135], v106 offset0:50 offset1:131
	v_mul_u32_u24_e32 v5, 0x78, v5
	s_wait_loadcnt_dscnt 0x503
	v_mul_f32_e32 v53, v118, v137
	v_mul_f32_e32 v120, v50, v137
	s_delay_alu instid0(VALU_DEP_2) | instskip(SKIP_2) | instid1(VALU_DEP_3)
	v_dual_mul_f32 v130, v48, v139 :: v_dual_fmac_f32 v53, v50, v136
	s_wait_loadcnt_dscnt 0x402
	v_dual_mul_f32 v52, v124, v143 :: v_dual_mul_f32 v117, v55, v133
	v_fma_f32 v129, v118, v136, -v120
	ds_load_2addr_b32 v[136:137], v107 offset0:92 offset1:173
	v_mul_f32_e32 v50, v119, v141
	v_fmac_f32_e32 v52, v49, v142
	v_fma_f32 v55, v161, v132, -v117
	ds_load_2addr_b32 v[160:161], v104 offset0:58 offset1:139
	v_mul_f32_e32 v117, v123, v139
	v_dual_fmac_f32 v50, v51, v140 :: v_dual_mul_f32 v49, v49, v143
	v_fma_f32 v118, v123, v138, -v130
	s_delay_alu instid0(VALU_DEP_3)
	v_dual_fmac_f32 v117, v48, v138 :: v_dual_mul_f32 v48, v51, v141
	ds_load_b32 v138, v109
	ds_load_b32 v139, v108
	v_fma_f32 v123, v119, v140, -v48
	s_wait_loadcnt_dscnt 0x305
	v_mul_f32_e32 v48, v125, v145
	v_mul_f32_e32 v119, v46, v145
	s_delay_alu instid0(VALU_DEP_2)
	v_fmac_f32_e32 v48, v46, v144
	s_wait_loadcnt 0x1
	v_mul_f32_e32 v46, v45, v151
	s_wait_dscnt 0x2
	v_dual_mul_f32 v120, v126, v149 :: v_dual_mul_f32 v51, v160, v147
	v_fma_f32 v133, v124, v142, -v49
	v_mul_f32_e32 v49, v44, v147
	v_fma_f32 v124, v125, v144, -v119
	s_delay_alu instid0(VALU_DEP_4)
	v_dual_fmac_f32 v120, v47, v148 :: v_dual_fmac_f32 v51, v44, v146
	v_mul_f32_e32 v44, v47, v149
	s_wait_loadcnt 0x0
	v_mul_f32_e32 v47, v134, v153
	v_mul_f32_e32 v125, v161, v151
	v_fma_f32 v130, v161, v150, -v46
	v_lshlrev_b32_e32 v7, 2, v7
	v_fma_f32 v132, v126, v148, -v44
	v_mul_f32_e32 v44, v42, v153
	v_fma_f32 v119, v160, v146, -v49
	v_fmac_f32_e32 v47, v42, v152
	v_mul_f32_e32 v49, v136, v155
	v_dual_mul_f32 v42, v40, v155 :: v_dual_fmac_f32 v125, v45, v150
	v_mul_f32_e32 v45, v135, v157
	v_fma_f32 v126, v134, v152, -v44
	s_delay_alu instid0(VALU_DEP_4) | instskip(NEXT) | instid1(VALU_DEP_4)
	v_dual_mul_f32 v44, v43, v157 :: v_dual_fmac_f32 v49, v40, v154
	v_fma_f32 v46, v136, v154, -v42
	v_mul_f32_e32 v40, v41, v159
	v_dual_add_f32 v42, v33, v35 :: v_dual_fmac_f32 v45, v43, v156
	s_delay_alu instid0(VALU_DEP_4)
	v_fma_f32 v134, v135, v156, -v44
	v_mul_f32_e32 v135, v137, v159
	v_add_f32_e32 v43, v115, v33
	v_fma_f32 v136, v137, v158, -v40
	v_fmac_f32_e32 v115, -0.5, v42
	v_add3_u32 v137, 0, v5, v7
	v_sub_f32_e32 v7, v165, v166
	v_add_f32_e32 v5, v43, v35
	ds_load_b32 v140, v38
	ds_load_b32 v141, v60
	;; [unrolled: 1-line block ×8, first 2 shown]
	global_wb scope:SCOPE_SE
	s_wait_dscnt 0x0
	s_barrier_signal -1
	v_fmamk_f32 v40, v7, 0xbf5db3d7, v115
	s_barrier_wait -1
	global_inv scope:SCOPE_SE
	v_fmac_f32_e32 v115, 0x3f5db3d7, v7
	v_lshlrev_b32_e32 v7, 2, v9
	ds_store_2addr_b32 v137, v5, v40 offset1:10
	v_add_f32_e32 v5, v58, v116
	v_add_f32_e32 v9, v114, v58
	ds_store_b32 v137, v115 offset:80
	v_add3_u32 v115, 0, v3, v7
	v_dual_fmac_f32 v114, -0.5, v5 :: v_dual_and_b32 v7, 0xffff, v8
	v_sub_f32_e32 v5, v121, v127
	v_add_f32_e32 v3, v9, v116
	v_add_f32_e32 v9, v57, v122
	s_delay_alu instid0(VALU_DEP_4)
	v_mul_u32_u24_e32 v7, 0x78, v7
	v_sub_f32_e32 v152, v33, v35
	v_fmamk_f32 v8, v5, 0xbf5db3d7, v114
	v_fmac_f32_e32 v114, 0x3f5db3d7, v5
	v_add_f32_e32 v5, v112, v57
	v_dual_fmac_f32 v112, -0.5, v9 :: v_dual_sub_f32 v9, v131, v59
	ds_store_2addr_b32 v115, v3, v8 offset1:10
	ds_store_b32 v115, v114 offset:80
	v_add3_u32 v114, 0, v7, v15
	v_add_f32_e32 v3, v5, v122
	v_add_f32_e32 v7, v54, v56
	v_fmamk_f32 v5, v9, 0xbf5db3d7, v112
	v_dual_fmac_f32 v112, 0x3f5db3d7, v9 :: v_dual_fmac_f32 v135, v41, v158
	v_dual_add_f32 v8, v113, v54 :: v_dual_lshlrev_b32 v9, 2, v13
	s_delay_alu instid0(VALU_DEP_4)
	v_fmac_f32_e32 v113, -0.5, v7
	v_sub_f32_e32 v7, v55, v128
	ds_store_2addr_b32 v114, v3, v5 offset1:10
	ds_store_b32 v114, v112 offset:80
	v_add3_u32 v112, 0, v6, v9
	v_dual_add_f32 v6, v53, v117 :: v_dual_add_f32 v3, v8, v56
	v_fmamk_f32 v5, v7, 0xbf5db3d7, v113
	v_fmac_f32_e32 v113, 0x3f5db3d7, v7
	v_add_f32_e32 v7, v111, v53
	v_lshlrev_b32_e32 v9, 2, v20
	v_fmac_f32_e32 v111, -0.5, v6
	v_sub_f32_e32 v6, v129, v118
	v_mul_u32_u24_e32 v8, 0x78, v12
	ds_store_2addr_b32 v112, v3, v5 offset1:10
	ds_store_b32 v112, v113 offset:80
	v_add_f32_e32 v153, v121, v127
	v_add_f32_e32 v3, v7, v117
	v_fmamk_f32 v5, v6, 0xbf5db3d7, v111
	v_dual_fmac_f32 v111, 0x3f5db3d7, v6 :: v_dual_sub_f32 v58, v58, v116
	v_add_f32_e32 v6, v50, v52
	v_add3_u32 v113, 0, v8, v9
	v_mul_u32_u24_e32 v7, 0x78, v11
	v_dual_add_f32 v9, v110, v50 :: v_dual_lshlrev_b32 v8, 2, v17
	v_add_f32_e32 v116, v131, v59
	v_fmac_f32_e32 v110, -0.5, v6
	v_dual_add_f32 v6, v48, v51 :: v_dual_add_f32 v121, v138, v121
	v_fmac_f32_e32 v138, -0.5, v153
	ds_store_b32 v113, v111 offset:80
	v_add3_u32 v111, 0, v7, v8
	v_mul_u32_u24_e32 v7, 0x78, v16
	v_lshlrev_b32_e32 v8, 2, v37
	ds_store_2addr_b32 v113, v3, v5 offset1:10
	v_add_f32_e32 v3, v9, v52
	v_dual_add_f32 v9, v14, v48 :: v_dual_fmac_f32 v14, -0.5, v6
	v_dual_add_f32 v6, v120, v125 :: v_dual_add_f32 v121, v121, v127
	v_fmamk_f32 v127, v58, 0x3f5db3d7, v138
	v_fmac_f32_e32 v138, 0xbf5db3d7, v58
	v_add_f32_e32 v58, v139, v131
	v_sub_f32_e32 v5, v123, v133
	v_add3_u32 v148, 0, v7, v8
	v_dual_sub_f32 v7, v124, v119 :: v_dual_add_f32 v8, v10, v120
	v_lshlrev_b32_e32 v12, 2, v39
	v_fmac_f32_e32 v10, -0.5, v6
	v_sub_f32_e32 v6, v132, v130
	v_dual_add_f32 v58, v58, v59 :: v_dual_fmamk_f32 v11, v5, 0xbf5db3d7, v110
	v_sub_f32_e32 v54, v54, v56
	v_dual_fmac_f32 v110, 0x3f5db3d7, v5 :: v_dual_add_f32 v5, v9, v51
	v_mul_u32_u24_e32 v9, 0x78, v19
	v_dual_add_f32 v56, v129, v118 :: v_dual_fmamk_f32 v13, v7, 0xbf5db3d7, v14
	v_dual_fmac_f32 v14, 0x3f5db3d7, v7 :: v_dual_add_f32 v7, v8, v125
	s_delay_alu instid0(VALU_DEP_3)
	v_add3_u32 v149, 0, v9, v12
	v_fmamk_f32 v8, v6, 0xbf5db3d7, v10
	ds_store_2addr_b32 v111, v3, v11 offset1:10
	ds_store_b32 v111, v110 offset:80
	ds_store_2addr_b32 v148, v5, v13 offset1:10
	ds_store_b32 v148, v14 offset:80
	ds_store_2addr_b32 v149, v7, v8 offset1:10
	v_fmac_f32_e32 v10, 0x3f5db3d7, v6
	v_mul_u32_u24_e32 v5, 0x78, v21
	v_dual_sub_f32 v53, v53, v117 :: v_dual_lshlrev_b32 v6, 2, v164
	v_add_f32_e32 v3, v47, v49
	v_dual_add_f32 v7, v4, v47 :: v_dual_add_f32 v8, v2, v45
	s_delay_alu instid0(VALU_DEP_3) | instskip(SKIP_1) | instid1(VALU_DEP_4)
	v_add3_u32 v110, 0, v5, v6
	v_add_f32_e32 v6, v45, v135
	v_dual_fmac_f32 v4, -0.5, v3 :: v_dual_sub_f32 v3, v126, v46
	s_delay_alu instid0(VALU_DEP_4) | instskip(NEXT) | instid1(VALU_DEP_3)
	v_dual_add_f32 v5, v7, v49 :: v_dual_sub_f32 v50, v50, v52
	v_fmac_f32_e32 v2, -0.5, v6
	s_delay_alu instid0(VALU_DEP_3)
	v_dual_sub_f32 v6, v134, v136 :: v_dual_fmamk_f32 v7, v3, 0xbf5db3d7, v4
	v_fmac_f32_e32 v4, 0x3f5db3d7, v3
	v_dual_add_f32 v3, v8, v135 :: v_dual_add_f32 v8, v165, v166
	ds_store_b32 v149, v10 offset:80
	v_mul_u32_u24_e32 v9, 0x78, v18
	v_lshlrev_b32_e32 v10, 2, v34
	ds_store_2addr_b32 v110, v5, v7 offset1:10
	v_dual_fmamk_f32 v5, v6, 0xbf5db3d7, v2 :: v_dual_sub_f32 v48, v48, v51
	v_dual_add_f32 v7, v140, v165 :: v_dual_fmac_f32 v140, -0.5, v8
	v_add3_u32 v150, 0, v9, v10
	v_fmac_f32_e32 v2, 0x3f5db3d7, v6
	ds_store_b32 v110, v4 offset:80
	v_dual_add_f32 v151, v7, v166 :: v_dual_fmamk_f32 v154, v152, 0x3f5db3d7, v140
	v_fmac_f32_e32 v140, 0xbf5db3d7, v152
	ds_store_2addr_b32 v150, v3, v5 offset1:10
	ds_store_b32 v150, v2 offset:80
	global_wb scope:SCOPE_SE
	s_wait_dscnt 0x0
	s_barrier_signal -1
	s_barrier_wait -1
	global_inv scope:SCOPE_SE
	ds_load_b32 v43, v109
	ds_load_b32 v42, v108
	;; [unrolled: 1-line block ×10, first 2 shown]
	ds_load_2addr_b32 v[20:21], v61 offset0:42 offset1:123
	ds_load_2addr_b32 v[18:19], v93 offset0:84 offset1:165
	;; [unrolled: 1-line block ×10, first 2 shown]
	global_wb scope:SCOPE_SE
	s_wait_dscnt 0x0
	s_barrier_signal -1
	s_barrier_wait -1
	global_inv scope:SCOPE_SE
	ds_store_2addr_b32 v137, v151, v154 offset1:10
	ds_store_b32 v137, v140 offset:80
	ds_store_2addr_b32 v115, v121, v127 offset1:10
	ds_store_b32 v115, v138 offset:80
	v_add_f32_e32 v115, v55, v128
	v_fmac_f32_e32 v139, -0.5, v116
	v_sub_f32_e32 v57, v57, v122
	v_add_f32_e32 v55, v141, v55
	v_sub_f32_e32 v47, v47, v49
	v_fmac_f32_e32 v141, -0.5, v115
	v_add_f32_e32 v51, v145, v132
	v_fmamk_f32 v59, v57, 0x3f5db3d7, v139
	v_fmac_f32_e32 v139, 0xbf5db3d7, v57
	v_add_f32_e32 v55, v55, v128
	v_fmamk_f32 v57, v54, 0x3f5db3d7, v141
	v_fmac_f32_e32 v141, 0xbf5db3d7, v54
	ds_store_2addr_b32 v114, v58, v59 offset1:10
	ds_store_b32 v114, v139 offset:80
	v_add_f32_e32 v54, v142, v129
	v_fmac_f32_e32 v142, -0.5, v56
	ds_store_2addr_b32 v112, v55, v57 offset1:10
	ds_store_b32 v112, v141 offset:80
	v_add_f32_e32 v55, v123, v133
	v_add_f32_e32 v49, v147, v134
	;; [unrolled: 1-line block ×3, first 2 shown]
	v_fmamk_f32 v56, v53, 0x3f5db3d7, v142
	v_dual_fmac_f32 v142, 0xbf5db3d7, v53 :: v_dual_add_f32 v53, v143, v123
	v_fmac_f32_e32 v143, -0.5, v55
	ds_store_2addr_b32 v113, v54, v56 offset1:10
	ds_store_b32 v113, v142 offset:80
	v_dual_add_f32 v55, v144, v124 :: v_dual_add_f32 v52, v53, v133
	v_fmamk_f32 v54, v50, 0x3f5db3d7, v143
	v_fmac_f32_e32 v143, 0xbf5db3d7, v50
	v_add_f32_e32 v50, v132, v130
	v_add_f32_e32 v53, v124, v119
	;; [unrolled: 1-line block ×4, first 2 shown]
	ds_store_2addr_b32 v111, v52, v54 offset1:10
	v_dual_fmac_f32 v145, -0.5, v50 :: v_dual_sub_f32 v50, v120, v125
	v_dual_fmac_f32 v144, -0.5, v53 :: v_dual_add_f32 v53, v55, v119
	ds_store_b32 v111, v143 offset:80
	v_fmamk_f32 v56, v50, 0x3f5db3d7, v145
	v_dual_fmac_f32 v145, 0xbf5db3d7, v50 :: v_dual_add_f32 v50, v134, v136
	v_fmamk_f32 v55, v48, 0x3f5db3d7, v144
	v_fmac_f32_e32 v144, 0xbf5db3d7, v48
	v_add_f32_e32 v48, v51, v130
	v_add_f32_e32 v51, v126, v46
	v_dual_fmac_f32 v147, -0.5, v50 :: v_dual_sub_f32 v50, v45, v135
	v_lshrrev_b16 v45, 12, v31
	v_add_f32_e32 v46, v57, v46
	s_delay_alu instid0(VALU_DEP_4)
	v_fmac_f32_e32 v146, -0.5, v51
	ds_store_2addr_b32 v148, v53, v55 offset1:10
	ds_store_b32 v148, v144 offset:80
	v_fmamk_f32 v57, v50, 0x3f5db3d7, v147
	v_mul_lo_u16 v31, v45, 30
	ds_store_2addr_b32 v149, v48, v56 offset1:10
	v_fmamk_f32 v51, v47, 0x3f5db3d7, v146
	v_fmac_f32_e32 v146, 0xbf5db3d7, v47
	ds_store_b32 v149, v145 offset:80
	ds_store_2addr_b32 v110, v46, v51 offset1:10
	v_sub_nc_u16 v47, v78, v31
	v_lshrrev_b16 v31, 12, v32
	v_mul_lo_u16 v46, 0x89, v28
	v_fmac_f32_e32 v147, 0xbf5db3d7, v50
	ds_store_b32 v110, v146 offset:80
	ds_store_2addr_b32 v150, v49, v57 offset1:10
	ds_store_b32 v150, v147 offset:80
	v_mul_lo_u16 v32, v31, 30
	v_mul_u32_u24_e32 v53, 0x8889, v29
	v_and_b32_e32 v47, 0xff, v47
	global_wb scope:SCOPE_SE
	s_wait_dscnt 0x0
	s_barrier_signal -1
	v_sub_nc_u16 v49, v85, v32
	v_lshrrev_b16 v32, 12, v46
	v_lshlrev_b32_e32 v48, 4, v47
	v_mul_u32_u24_e32 v46, 0x8889, v26
	s_barrier_wait -1
	global_inv scope:SCOPE_SE
	v_mul_lo_u16 v50, v32, 30
	global_load_b128 v[110:113], v48, s[4:5] offset:160
	v_and_b32_e32 v49, 0xff, v49
	v_lshrrev_b32_e32 v46, 20, v46
	v_mul_u32_u24_e32 v55, 0x8889, v24
	v_sub_nc_u16 v50, v84, v50
	v_mul_lo_u16 v28, 0xb7, v28
	v_mul_u32_u24_e32 v26, 0x2d83, v26
	v_mul_lo_u16 v52, v46, 30
	v_mul_u32_u24_e32 v29, 0x2d83, v29
	v_and_b32_e32 v51, 0xff, v50
	v_lshrrev_b32_e32 v50, 20, v53
	v_lshrrev_b16 v28, 14, v28
	s_delay_alu instid0(VALU_DEP_3) | instskip(NEXT) | instid1(VALU_DEP_3)
	v_lshlrev_b32_e32 v53, 4, v51
	v_mul_lo_u16 v54, v50, 30
	global_load_b128 v[126:129], v53, s[4:5] offset:160
	v_sub_nc_u16 v53, v87, v54
	v_lshlrev_b32_e32 v48, 4, v49
	s_delay_alu instid0(VALU_DEP_2)
	v_and_b32_e32 v137, 0xffff, v53
	v_lshrrev_b32_e32 v53, 20, v55
	global_load_b128 v[116:119], v48, s[4:5] offset:160
	v_lshlrev_b32_e32 v55, 4, v137
	global_load_b128 v[143:146], v55, s[4:5] offset:160
	v_sub_nc_u16 v48, v86, v52
	v_mul_u32_u24_e32 v52, 0x8889, v27
	v_mul_u32_u24_e32 v27, 0x2d83, v27
	s_delay_alu instid0(VALU_DEP_3) | instskip(NEXT) | instid1(VALU_DEP_3)
	v_and_b32_e32 v57, 0xffff, v48
	v_lshrrev_b32_e32 v48, 20, v52
	s_delay_alu instid0(VALU_DEP_3) | instskip(NEXT) | instid1(VALU_DEP_3)
	v_lshrrev_b32_e32 v27, 20, v27
	v_lshlrev_b32_e32 v52, 4, v57
	s_delay_alu instid0(VALU_DEP_3) | instskip(SKIP_3) | instid1(VALU_DEP_2)
	v_mul_lo_u16 v54, v48, 30
	global_load_b128 v[130:133], v52, s[4:5] offset:160
	v_sub_nc_u16 v52, v88, v54
	v_mul_u32_u24_e32 v54, 0x8889, v22
	v_and_b32_e32 v138, 0xffff, v52
	v_mul_lo_u16 v52, v53, 30
	s_delay_alu instid0(VALU_DEP_3) | instskip(SKIP_1) | instid1(VALU_DEP_4)
	v_lshrrev_b32_e32 v120, 20, v54
	v_mul_u32_u24_e32 v54, 0x8889, v25
	v_lshlrev_b32_e32 v55, 4, v138
	s_delay_alu instid0(VALU_DEP_4) | instskip(NEXT) | instid1(VALU_DEP_4)
	v_sub_nc_u16 v52, v89, v52
	v_mul_lo_u16 v56, v120, 30
	s_delay_alu instid0(VALU_DEP_4)
	v_lshrrev_b32_e32 v136, 20, v54
	v_mul_u32_u24_e32 v54, 0x8889, v23
	global_load_b128 v[147:150], v55, s[4:5] offset:160
	v_and_b32_e32 v167, 0xffff, v52
	v_sub_nc_u16 v52, v90, v56
	v_lshrrev_b32_e32 v139, 20, v54
	s_delay_alu instid0(VALU_DEP_3) | instskip(NEXT) | instid1(VALU_DEP_3)
	v_lshlrev_b32_e32 v56, 4, v167
	v_and_b32_e32 v168, 0xffff, v52
	s_delay_alu instid0(VALU_DEP_3) | instskip(SKIP_2) | instid1(VALU_DEP_1)
	v_mul_lo_u16 v54, v139, 30
	global_load_b128 v[151:154], v56, s[4:5] offset:160
	v_mul_lo_u16 v55, v136, 30
	v_sub_nc_u16 v52, v91, v55
	v_lshlrev_b32_e32 v55, 4, v168
	global_load_b128 v[155:158], v55, s[4:5] offset:160
	v_and_b32_e32 v169, 0xffff, v52
	v_sub_nc_u16 v52, v92, v54
	s_delay_alu instid0(VALU_DEP_2) | instskip(NEXT) | instid1(VALU_DEP_2)
	v_lshlrev_b32_e32 v54, 4, v169
	v_and_b32_e32 v142, 0xffff, v52
	global_load_b128 v[159:162], v54, s[4:5] offset:160
	v_lshlrev_b32_e32 v52, 4, v142
	global_load_b128 v[163:166], v52, s[4:5] offset:160
	ds_load_2addr_b32 v[54:55], v61 offset0:42 offset1:123
	ds_load_2addr_b32 v[114:115], v93 offset0:84 offset1:165
	ds_load_2addr_b32 v[121:122], v95 offset0:76 offset1:157
	ds_load_2addr_b32 v[134:135], v96 offset0:118 offset1:199
	s_wait_loadcnt_dscnt 0x903
	v_mul_f32_e32 v140, v54, v111
	v_mul_f32_e32 v52, v20, v111
	;; [unrolled: 1-line block ×3, first 2 shown]
	s_wait_dscnt 0x2
	s_delay_alu instid0(VALU_DEP_3) | instskip(NEXT) | instid1(VALU_DEP_3)
	v_dual_mul_f32 v141, v114, v113 :: v_dual_fmac_f32 v140, v20, v110
	v_fma_f32 v170, v54, v110, -v52
	s_delay_alu instid0(VALU_DEP_3) | instskip(SKIP_3) | instid1(VALU_DEP_2)
	v_fma_f32 v171, v114, v112, -v56
	s_wait_loadcnt_dscnt 0x801
	v_mul_f32_e32 v59, v121, v127
	v_mul_f32_e32 v54, v16, v127
	v_fmac_f32_e32 v59, v16, v126
	s_delay_alu instid0(VALU_DEP_2) | instskip(SKIP_3) | instid1(VALU_DEP_2)
	v_fma_f32 v126, v121, v126, -v54
	s_wait_loadcnt 0x7
	v_mul_f32_e32 v111, v55, v117
	v_dual_mul_f32 v20, v21, v117 :: v_dual_mul_f32 v117, v115, v119
	v_dual_mul_f32 v52, v19, v119 :: v_dual_fmac_f32 v111, v21, v116
	s_delay_alu instid0(VALU_DEP_2)
	v_fma_f32 v124, v55, v116, -v20
	ds_load_2addr_b32 v[20:21], v99 offset0:110 offset1:191
	s_wait_loadcnt 0x6
	v_dual_mul_f32 v55, v14, v129 :: v_dual_mul_f32 v56, v12, v144
	v_fma_f32 v125, v115, v118, -v52
	s_wait_dscnt 0x1
	s_delay_alu instid0(VALU_DEP_2)
	v_fma_f32 v113, v134, v128, -v55
	s_wait_loadcnt 0x5
	v_mul_f32_e32 v54, v135, v133
	v_dual_mul_f32 v55, v15, v133 :: v_dual_mul_f32 v52, v122, v131
	s_wait_dscnt 0x0
	v_mul_f32_e32 v110, v20, v144
	v_mul_f32_e32 v16, v17, v131
	v_fmac_f32_e32 v54, v15, v132
	v_fma_f32 v127, v135, v132, -v55
	v_fma_f32 v132, v20, v143, -v56
	v_fmac_f32_e32 v110, v12, v143
	ds_load_2addr_b32 v[143:144], v106 offset0:50 offset1:131
	v_dual_fmac_f32 v117, v19, v118 :: v_dual_mul_f32 v118, v134, v129
	v_fmac_f32_e32 v52, v17, v130
	v_mul_f32_e32 v55, v10, v146
	s_delay_alu instid0(VALU_DEP_3)
	v_fmac_f32_e32 v118, v14, v128
	ds_load_2addr_b32 v[14:15], v104 offset0:58 offset1:139
	s_wait_loadcnt 0x4
	v_mul_f32_e32 v58, v21, v148
	v_mul_f32_e32 v12, v11, v150
	s_wait_loadcnt_dscnt 0x300
	s_delay_alu instid0(VALU_DEP_2) | instskip(SKIP_1) | instid1(VALU_DEP_1)
	v_dual_fmac_f32 v58, v13, v147 :: v_dual_mul_f32 v115, v14, v154
	s_wait_loadcnt 0x1
	v_dual_fmac_f32 v115, v6, v153 :: v_dual_mul_f32 v56, v143, v160
	s_delay_alu instid0(VALU_DEP_1)
	v_fmac_f32_e32 v56, v4, v159
	s_wait_loadcnt 0x0
	v_mul_f32_e32 v116, v144, v164
	v_fmac_f32_e32 v141, v18, v112
	ds_load_2addr_b32 v[18:19], v100 offset0:152 offset1:233
	v_fma_f32 v112, v122, v130, -v16
	ds_load_2addr_b32 v[16:17], v103 offset0:16 offset1:97
	v_fmac_f32_e32 v116, v5, v163
	v_mul_f32_e32 v130, v15, v158
	s_delay_alu instid0(VALU_DEP_1)
	v_fmac_f32_e32 v130, v7, v157
	s_wait_dscnt 0x1
	v_mul_f32_e32 v114, v19, v150
	v_fma_f32 v135, v19, v149, -v12
	s_wait_dscnt 0x0
	v_dual_mul_f32 v123, v17, v156 :: v_dual_mul_f32 v12, v6, v154
	v_mul_f32_e32 v6, v9, v156
	v_fmac_f32_e32 v114, v11, v149
	v_fma_f32 v121, v18, v145, -v55
	s_delay_alu instid0(VALU_DEP_4)
	v_fmac_f32_e32 v123, v9, v155
	v_add_f32_e32 v9, v44, v140
	v_mul_f32_e32 v119, v18, v146
	v_fma_f32 v134, v17, v155, -v6
	v_mul_f32_e32 v6, v4, v160
	v_fma_f32 v122, v14, v153, -v12
	s_delay_alu instid0(VALU_DEP_4) | instskip(SKIP_1) | instid1(VALU_DEP_4)
	v_dual_fmac_f32 v119, v10, v145 :: v_dual_mul_f32 v10, v13, v148
	v_mul_f32_e32 v13, v8, v152
	v_fma_f32 v131, v143, v159, -v6
	v_dual_mul_f32 v6, v5, v164 :: v_dual_and_b32 v5, 0xffff, v45
	s_delay_alu instid0(VALU_DEP_4)
	v_fma_f32 v128, v21, v147, -v10
	ds_load_2addr_b32 v[10:11], v107 offset0:92 offset1:173
	v_fma_f32 v129, v16, v151, -v13
	v_fma_f32 v45, v144, v163, -v6
	v_mul_f32_e32 v6, v3, v166
	v_mul_u32_u24_e32 v5, 0x168, v5
	s_wait_dscnt 0x0
	v_dual_mul_f32 v4, v10, v162 :: v_dual_lshlrev_b32 v13, 2, v168
	s_delay_alu instid0(VALU_DEP_1) | instskip(SKIP_1) | instid1(VALU_DEP_2)
	v_dual_mul_f32 v143, v11, v166 :: v_dual_fmac_f32 v4, v2, v161
	v_mul_f32_e32 v55, v16, v152
	v_fmac_f32_e32 v143, v3, v165
	v_fma_f32 v3, v11, v165, -v6
	v_dual_add_f32 v6, v9, v141 :: v_dual_and_b32 v9, 0xffff, v31
	s_delay_alu instid0(VALU_DEP_4) | instskip(SKIP_2) | instid1(VALU_DEP_3)
	v_dual_fmac_f32 v55, v8, v151 :: v_dual_mul_f32 v8, v7, v158
	v_mul_f32_e32 v7, v2, v162
	v_lshlrev_b32_e32 v11, 2, v51
	v_fma_f32 v133, v15, v157, -v8
	s_delay_alu instid0(VALU_DEP_3)
	v_fma_f32 v2, v10, v161, -v7
	v_dual_add_f32 v7, v140, v141 :: v_dual_lshlrev_b32 v8, 2, v47
	ds_load_b32 v47, v109
	ds_load_b32 v144, v108
	;; [unrolled: 1-line block ×10, first 2 shown]
	global_wb scope:SCOPE_SE
	s_wait_dscnt 0x0
	v_fmac_f32_e32 v44, -0.5, v7
	v_sub_f32_e32 v7, v170, v171
	v_add3_u32 v5, 0, v5, v8
	s_barrier_signal -1
	s_barrier_wait -1
	global_inv scope:SCOPE_SE
	v_fmamk_f32 v8, v7, 0xbf5db3d7, v44
	v_fmac_f32_e32 v44, 0x3f5db3d7, v7
	v_mul_u32_u24_e32 v7, 0x168, v9
	v_add_f32_e32 v9, v43, v111
	v_add_f32_e32 v10, v59, v118
	ds_store_2addr_b32 v5, v6, v8 offset1:30
	v_add_f32_e32 v6, v111, v117
	v_lshlrev_b32_e32 v8, 2, v49
	ds_store_b32 v5, v44 offset:240
	v_sub_f32_e32 v111, v111, v117
	v_dual_fmac_f32 v43, -0.5, v6 :: v_dual_sub_f32 v6, v124, v125
	v_add3_u32 v44, 0, v7, v8
	v_dual_add_f32 v7, v9, v117 :: v_dual_and_b32 v8, 0xffff, v32
	s_delay_alu instid0(VALU_DEP_3) | instskip(SKIP_1) | instid1(VALU_DEP_3)
	v_fmamk_f32 v9, v6, 0xbf5db3d7, v43
	v_fmac_f32_e32 v43, 0x3f5db3d7, v6
	v_mul_u32_u24_e32 v8, 0x168, v8
	v_add_f32_e32 v6, v42, v59
	v_fmac_f32_e32 v42, -0.5, v10
	v_sub_f32_e32 v10, v126, v113
	ds_store_2addr_b32 v44, v7, v9 offset1:30
	ds_store_b32 v44, v43 offset:240
	v_add3_u32 v43, 0, v8, v11
	v_add_f32_e32 v8, v52, v54
	v_add_f32_e32 v6, v6, v118
	v_fmamk_f32 v7, v10, 0xbf5db3d7, v42
	v_dual_add_f32 v9, v41, v52 :: v_dual_fmac_f32 v42, 0x3f5db3d7, v10
	v_mul_u32_u24_e32 v10, 0x168, v46
	v_lshlrev_b32_e32 v11, 2, v57
	v_dual_fmac_f32 v41, -0.5, v8 :: v_dual_sub_f32 v8, v112, v127
	ds_store_2addr_b32 v43, v6, v7 offset1:30
	ds_store_b32 v43, v42 offset:240
	v_dual_add_f32 v6, v9, v54 :: v_dual_add_f32 v9, v110, v119
	v_add3_u32 v46, 0, v10, v11
	v_fmamk_f32 v7, v8, 0xbf5db3d7, v41
	v_dual_fmac_f32 v41, 0x3f5db3d7, v8 :: v_dual_add_f32 v8, v40, v110
	v_mul_u32_u24_e32 v10, 0x168, v50
	v_lshlrev_b32_e32 v11, 2, v137
	v_fmac_f32_e32 v40, -0.5, v9
	v_sub_f32_e32 v9, v132, v121
	ds_store_2addr_b32 v46, v6, v7 offset1:30
	ds_store_b32 v46, v41 offset:240
	v_add_f32_e32 v6, v8, v119
	v_add_f32_e32 v8, v58, v114
	v_add3_u32 v49, 0, v10, v11
	v_fmamk_f32 v7, v9, 0xbf5db3d7, v40
	v_fmac_f32_e32 v40, 0x3f5db3d7, v9
	v_mul_u32_u24_e32 v9, 0x168, v48
	v_lshlrev_b32_e32 v10, 2, v138
	v_add_f32_e32 v11, v39, v58
	v_dual_fmac_f32 v39, -0.5, v8 :: v_dual_add_f32 v8, v55, v115
	ds_store_2addr_b32 v49, v6, v7 offset1:30
	v_add3_u32 v48, 0, v9, v10
	v_mul_u32_u24_e32 v9, 0x168, v53
	v_lshlrev_b32_e32 v10, 2, v167
	v_dual_add_f32 v6, v11, v114 :: v_dual_sub_f32 v7, v128, v135
	v_add_f32_e32 v11, v37, v55
	v_dual_fmac_f32 v37, -0.5, v8 :: v_dual_add_f32 v8, v123, v130
	s_delay_alu instid0(VALU_DEP_4) | instskip(NEXT) | instid1(VALU_DEP_4)
	v_add3_u32 v50, 0, v9, v10
	v_dual_sub_f32 v9, v129, v122 :: v_dual_fmamk_f32 v12, v7, 0xbf5db3d7, v39
	v_fmac_f32_e32 v39, 0x3f5db3d7, v7
	v_add_f32_e32 v7, v11, v115
	v_add_f32_e32 v10, v35, v123
	v_mul_u32_u24_e32 v11, 0x168, v120
	v_dual_fmac_f32 v35, -0.5, v8 :: v_dual_sub_f32 v8, v134, v133
	v_fmamk_f32 v14, v9, 0xbf5db3d7, v37
	v_fmac_f32_e32 v37, 0x3f5db3d7, v9
	s_delay_alu instid0(VALU_DEP_4) | instskip(NEXT) | instid1(VALU_DEP_4)
	v_add3_u32 v51, 0, v11, v13
	v_dual_add_f32 v9, v10, v130 :: v_dual_fmamk_f32 v10, v8, 0xbf5db3d7, v35
	ds_store_b32 v49, v40 offset:240
	v_dual_add_f32 v137, v124, v125 :: v_dual_add_f32 v124, v47, v124
	ds_store_2addr_b32 v48, v6, v12 offset1:30
	ds_store_b32 v48, v39 offset:240
	ds_store_2addr_b32 v50, v7, v14 offset1:30
	ds_store_b32 v50, v37 offset:240
	ds_store_2addr_b32 v51, v9, v10 offset1:30
	v_add_f32_e32 v6, v56, v4
	v_fmac_f32_e32 v35, 0x3f5db3d7, v8
	v_mul_u32_u24_e32 v7, 0x168, v136
	v_lshlrev_b32_e32 v8, 2, v169
	v_dual_add_f32 v10, v33, v116 :: v_dual_fmac_f32 v47, -0.5, v137
	v_dual_add_f32 v9, v34, v56 :: v_dual_fmac_f32 v34, -0.5, v6
	v_sub_f32_e32 v6, v131, v2
	s_delay_alu instid0(VALU_DEP_4) | instskip(NEXT) | instid1(VALU_DEP_3)
	v_add3_u32 v53, 0, v7, v8
	v_dual_add_f32 v8, v116, v143 :: v_dual_add_f32 v7, v9, v4
	ds_store_b32 v51, v35 offset:240
	v_fmamk_f32 v9, v6, 0xbf5db3d7, v34
	v_fmac_f32_e32 v34, 0x3f5db3d7, v6
	v_add_f32_e32 v6, v10, v143
	v_add_f32_e32 v10, v170, v171
	v_mul_u32_u24_e32 v11, 0x168, v139
	v_dual_fmac_f32 v33, -0.5, v8 :: v_dual_lshlrev_b32 v12, 2, v142
	v_sub_f32_e32 v8, v45, v3
	ds_store_2addr_b32 v53, v7, v9 offset1:30
	v_add_f32_e32 v9, v145, v170
	v_dual_fmac_f32 v145, -0.5, v10 :: v_dual_sub_f32 v136, v140, v141
	v_add3_u32 v57, 0, v11, v12
	v_fmamk_f32 v7, v8, 0xbf5db3d7, v33
	s_delay_alu instid0(VALU_DEP_4) | instskip(NEXT) | instid1(VALU_DEP_4)
	v_dual_fmac_f32 v33, 0x3f5db3d7, v8 :: v_dual_add_f32 v120, v9, v171
	v_fmamk_f32 v138, v136, 0x3f5db3d7, v145
	v_fmac_f32_e32 v145, 0xbf5db3d7, v136
	ds_store_b32 v53, v34 offset:240
	ds_store_2addr_b32 v57, v6, v7 offset1:30
	ds_store_b32 v57, v33 offset:240
	global_wb scope:SCOPE_SE
	s_wait_dscnt 0x0
	s_barrier_signal -1
	s_barrier_wait -1
	global_inv scope:SCOPE_SE
	ds_load_b32 v41, v109
	ds_load_b32 v40, v108
	;; [unrolled: 1-line block ×10, first 2 shown]
	ds_load_2addr_b32 v[159:160], v61 offset0:42 offset1:123
	ds_load_2addr_b32 v[161:162], v93 offset0:84 offset1:165
	;; [unrolled: 1-line block ×10, first 2 shown]
	global_wb scope:SCOPE_SE
	s_wait_dscnt 0x0
	s_barrier_signal -1
	s_barrier_wait -1
	global_inv scope:SCOPE_SE
	ds_store_2addr_b32 v5, v120, v138 offset1:30
	ds_store_b32 v5, v145 offset:240
	v_add_f32_e32 v5, v126, v113
	v_dual_add_f32 v117, v124, v125 :: v_dual_fmamk_f32 v120, v111, 0x3f5db3d7, v47
	v_fmac_f32_e32 v47, 0xbf5db3d7, v111
	s_delay_alu instid0(VALU_DEP_3)
	v_dual_add_f32 v111, v144, v126 :: v_dual_fmac_f32 v144, -0.5, v5
	v_sub_f32_e32 v5, v59, v118
	ds_store_2addr_b32 v44, v117, v120 offset1:30
	ds_store_b32 v44, v47 offset:240
	v_dual_add_f32 v44, v112, v127 :: v_dual_add_f32 v47, v111, v113
	v_dual_sub_f32 v4, v56, v4 :: v_dual_fmamk_f32 v59, v5, 0x3f5db3d7, v144
	v_dual_fmac_f32 v144, 0xbf5db3d7, v5 :: v_dual_add_f32 v5, v146, v112
	s_delay_alu instid0(VALU_DEP_3)
	v_fmac_f32_e32 v146, -0.5, v44
	v_sub_f32_e32 v44, v52, v54
	ds_store_2addr_b32 v43, v47, v59 offset1:30
	ds_store_b32 v43, v144 offset:240
	v_add_f32_e32 v5, v5, v127
	v_add_f32_e32 v47, v132, v121
	v_fmamk_f32 v43, v44, 0x3f5db3d7, v146
	v_fmac_f32_e32 v146, 0xbf5db3d7, v44
	v_add_f32_e32 v52, v147, v132
	ds_store_2addr_b32 v46, v5, v43 offset1:30
	v_add_f32_e32 v5, v128, v135
	ds_store_b32 v46, v146 offset:240
	v_add_f32_e32 v46, v148, v128
	v_dual_add_f32 v43, v52, v121 :: v_dual_add_f32 v52, v150, v134
	v_dual_fmac_f32 v148, -0.5, v5 :: v_dual_sub_f32 v5, v58, v114
	v_add_f32_e32 v58, v151, v131
	v_fmac_f32_e32 v147, -0.5, v47
	v_sub_f32_e32 v47, v110, v119
	s_delay_alu instid0(VALU_DEP_1)
	v_fmamk_f32 v44, v47, 0x3f5db3d7, v147
	v_fmac_f32_e32 v147, 0xbf5db3d7, v47
	v_add_f32_e32 v47, v149, v129
	ds_store_2addr_b32 v49, v43, v44 offset1:30
	v_dual_add_f32 v44, v129, v122 :: v_dual_add_f32 v43, v46, v135
	v_add_f32_e32 v47, v47, v122
	s_delay_alu instid0(VALU_DEP_2) | instskip(NEXT) | instid1(VALU_DEP_1)
	v_dual_fmac_f32 v149, -0.5, v44 :: v_dual_sub_f32 v44, v55, v115
	v_fmamk_f32 v54, v44, 0x3f5db3d7, v149
	v_dual_fmac_f32 v149, 0xbf5db3d7, v44 :: v_dual_add_f32 v44, v52, v133
	v_add_f32_e32 v52, v131, v2
	s_delay_alu instid0(VALU_DEP_1) | instskip(SKIP_1) | instid1(VALU_DEP_2)
	v_dual_fmac_f32 v151, -0.5, v52 :: v_dual_add_f32 v52, v58, v2
	v_lshlrev_b32_e32 v2, 1, v78
	v_fmamk_f32 v56, v4, 0x3f5db3d7, v151
	v_fmamk_f32 v46, v5, 0x3f5db3d7, v148
	v_fmac_f32_e32 v148, 0xbf5db3d7, v5
	v_add_f32_e32 v5, v134, v133
	s_delay_alu instid0(VALU_DEP_1) | instskip(SKIP_1) | instid1(VALU_DEP_1)
	v_dual_fmac_f32 v151, 0xbf5db3d7, v4 :: v_dual_fmac_f32 v150, -0.5, v5
	v_sub_f32_e32 v5, v123, v130
	v_fmamk_f32 v55, v5, 0x3f5db3d7, v150
	v_dual_fmac_f32 v150, 0xbf5db3d7, v5 :: v_dual_add_f32 v5, v45, v3
	v_add_f32_e32 v45, v152, v45
	s_delay_alu instid0(VALU_DEP_2) | instskip(NEXT) | instid1(VALU_DEP_2)
	v_dual_fmac_f32 v152, -0.5, v5 :: v_dual_sub_f32 v5, v116, v143
	v_add_f32_e32 v45, v45, v3
	s_delay_alu instid0(VALU_DEP_2)
	v_dual_mov_b32 v3, 0 :: v_dual_fmamk_f32 v58, v5, 0x3f5db3d7, v152
	v_fmac_f32_e32 v152, 0xbf5db3d7, v5
	ds_store_b32 v49, v147 offset:240
	ds_store_2addr_b32 v48, v43, v46 offset1:30
	ds_store_b32 v48, v148 offset:240
	ds_store_2addr_b32 v50, v47, v54 offset1:30
	;; [unrolled: 2-line block ×3, first 2 shown]
	ds_store_b32 v51, v150 offset:240
	v_mul_lo_u16 v51, 0x5a, v28
	v_lshrrev_b32_e32 v44, 20, v26
	ds_store_2addr_b32 v53, v52, v56 offset1:30
	ds_store_b32 v53, v151 offset:240
	ds_store_2addr_b32 v57, v45, v58 offset1:30
	ds_store_b32 v57, v152 offset:240
	global_wb scope:SCOPE_SE
	s_wait_dscnt 0x0
	v_sub_nc_u16 v26, v84, v51
	v_mul_lo_u16 v51, 0x5a, v44
	s_barrier_signal -1
	s_barrier_wait -1
	global_inv scope:SCOPE_SE
	v_and_b32_e32 v56, 0xff, v26
	v_lshrrev_b32_e32 v26, 20, v29
	v_sub_nc_u16 v29, v86, v51
	v_lshlrev_b64_e32 v[4:5], 3, v[2:3]
	s_delay_alu instid0(VALU_DEP_4) | instskip(NEXT) | instid1(VALU_DEP_4)
	v_dual_mov_b32 v46, v3 :: v_dual_lshlrev_b32 v53, 4, v56
	v_mul_lo_u16 v54, 0x5a, v26
	s_delay_alu instid0(VALU_DEP_4)
	v_and_b32_e32 v129, 0xffff, v29
	v_mul_lo_u16 v55, 0x5a, v27
	v_mul_u32_u24_e32 v57, 0x2d83, v22
	global_load_b128 v[118:121], v53, s[4:5] offset:640
	v_sub_nc_u16 v29, v87, v54
	v_lshlrev_b32_e32 v54, 4, v129
	v_mul_u32_u24_e32 v22, 0x795d, v22
	v_lshrrev_b32_e32 v125, 20, v57
	v_mul_u32_u24_e32 v57, 0x2d83, v23
	v_and_b32_e32 v130, 0xffff, v29
	global_load_b128 v[131:134], v54, s[4:5] offset:640
	v_add_nc_u32_e32 v43, -9, v78
	v_mul_u32_u24_e32 v53, 0x2d83, v24
	v_mul_u32_u24_e32 v24, 0x795d, v24
	v_lshlrev_b32_e32 v54, 4, v130
	v_lshrrev_b32_e32 v22, 23, v22
	s_wait_alu 0xf1ff
	v_cndmask_b32_e64 v43, v43, v85, s0
	v_add_co_u32 v4, s0, s4, v4
	s_wait_alu 0xf1ff
	v_add_co_ci_u32_e64 v5, s0, s5, v5, s0
	s_delay_alu instid0(VALU_DEP_3)
	v_lshlrev_b32_e32 v45, 1, v43
	v_lshrrev_b32_e32 v29, 20, v53
	v_sub_nc_u16 v53, v88, v55
	global_load_b128 v[135:138], v54, s[4:5] offset:640
	v_lshrrev_b32_e32 v24, 23, v24
	v_lshlrev_b64_e32 v[49:50], 3, v[45:46]
	global_load_b128 v[45:48], v[4:5], off offset:640
	v_and_b32_e32 v163, 0xffff, v53
	v_mul_lo_u16 v55, 0x5a, v29
	v_mul_lo_u16 v22, 0x10e, v22
	v_mul_u32_u24_e32 v23, 0x795d, v23
	v_add_co_u32 v49, s0, s4, v49
	s_wait_alu 0xf1ff
	v_add_co_ci_u32_e64 v50, s0, s5, v50, s0
	v_lshlrev_b32_e32 v54, 4, v163
	v_sub_nc_u16 v53, v89, v55
	v_mul_lo_u16 v55, 0x5a, v125
	global_load_b128 v[49:52], v[49:50], off offset:640
	v_cmp_lt_u32_e64 s0, 8, v78
	global_load_b128 v[139:142], v54, s[4:5] offset:640
	v_and_b32_e32 v164, 0xffff, v53
	v_mul_u32_u24_e32 v53, 0x2d83, v25
	v_sub_nc_u16 v22, v90, v22
	v_lshrrev_b32_e32 v23, 23, v23
	s_delay_alu instid0(VALU_DEP_4) | instskip(NEXT) | instid1(VALU_DEP_4)
	v_lshlrev_b32_e32 v54, 4, v164
	v_lshrrev_b32_e32 v165, 20, v53
	v_sub_nc_u16 v53, v90, v55
	global_load_b128 v[143:146], v54, s[4:5] offset:640
	v_lshrrev_b32_e32 v54, 20, v57
	v_mul_lo_u16 v55, 0x5a, v165
	v_and_b32_e32 v166, 0xffff, v53
	s_delay_alu instid0(VALU_DEP_3) | instskip(NEXT) | instid1(VALU_DEP_3)
	v_mul_lo_u16 v53, 0x5a, v54
	v_sub_nc_u16 v54, v91, v55
	s_delay_alu instid0(VALU_DEP_3) | instskip(NEXT) | instid1(VALU_DEP_3)
	v_lshlrev_b32_e32 v55, 4, v166
	v_sub_nc_u16 v53, v92, v53
	s_delay_alu instid0(VALU_DEP_3) | instskip(SKIP_3) | instid1(VALU_DEP_2)
	v_and_b32_e32 v167, 0xffff, v54
	global_load_b128 v[147:150], v55, s[4:5] offset:640
	v_and_b32_e32 v168, 0xffff, v53
	v_lshlrev_b32_e32 v53, 4, v167
	v_lshlrev_b32_e32 v54, 4, v168
	s_clause 0x1
	global_load_b128 v[151:154], v53, s[4:5] offset:640
	global_load_b128 v[155:158], v54, s[4:5] offset:640
	ds_load_2addr_b32 v[53:54], v61 offset0:42 offset1:123
	ds_load_2addr_b32 v[57:58], v93 offset0:84 offset1:165
	;; [unrolled: 1-line block ×4, first 2 shown]
	s_wait_loadcnt_dscnt 0x900
	v_dual_mul_f32 v123, v115, v121 :: v_dual_mul_f32 v114, v110, v119
	s_delay_alu instid0(VALU_DEP_1) | instskip(SKIP_2) | instid1(VALU_DEP_1)
	v_dual_fmac_f32 v123, v18, v120 :: v_dual_fmac_f32 v114, v20, v118
	s_wait_loadcnt 0x8
	v_mul_f32_e32 v59, v111, v132
	v_fmac_f32_e32 v59, v21, v131
	s_wait_loadcnt 0x6
	v_mul_f32_e32 v169, v53, v46
	v_mul_f32_e32 v46, v159, v46
	v_mul_f32_e32 v170, v57, v48
	s_delay_alu instid0(VALU_DEP_3) | instskip(NEXT) | instid1(VALU_DEP_3)
	v_dual_mul_f32 v48, v161, v48 :: v_dual_fmac_f32 v169, v159, v45
	v_fma_f32 v159, v53, v45, -v46
	ds_load_2addr_b32 v[45:46], v99 offset0:110 offset1:191
	v_fmac_f32_e32 v170, v161, v47
	v_fma_f32 v161, v57, v47, -v48
	s_wait_loadcnt 0x5
	v_mul_f32_e32 v113, v54, v50
	v_dual_mul_f32 v47, v160, v50 :: v_dual_mul_f32 v48, v162, v52
	v_mul_f32_e32 v50, v18, v121
	v_mul_f32_e32 v18, v21, v132
	s_delay_alu instid0(VALU_DEP_3) | instskip(NEXT) | instid1(VALU_DEP_3)
	v_fma_f32 v126, v58, v51, -v48
	v_fma_f32 v120, v115, v120, -v50
	s_delay_alu instid0(VALU_DEP_3)
	v_fma_f32 v124, v111, v131, -v18
	ds_load_2addr_b32 v[131:132], v104 offset0:58 offset1:139
	v_mul_f32_e32 v18, v14, v138
	s_wait_loadcnt_dscnt 0x401
	v_mul_f32_e32 v50, v46, v140
	v_fma_f32 v127, v54, v49, -v47
	ds_load_2addr_b32 v[47:48], v100 offset0:152 offset1:233
	v_mul_f32_e32 v117, v58, v52
	v_mul_f32_e32 v52, v45, v136
	v_dual_fmac_f32 v50, v17, v139 :: v_dual_fmac_f32 v113, v160, v49
	s_delay_alu instid0(VALU_DEP_2) | instskip(SKIP_1) | instid1(VALU_DEP_1)
	v_fmac_f32_e32 v52, v16, v135
	v_mul_f32_e32 v16, v16, v136
	v_fma_f32 v122, v45, v135, -v16
	s_wait_loadcnt_dscnt 0x201
	v_mul_f32_e32 v54, v132, v150
	s_delay_alu instid0(VALU_DEP_1)
	v_fmac_f32_e32 v54, v11, v149
	s_wait_dscnt 0x0
	v_mul_f32_e32 v58, v48, v142
	v_mul_f32_e32 v49, v20, v119
	ds_load_2addr_b32 v[20:21], v103 offset0:16 offset1:97
	v_fma_f32 v111, v47, v137, -v18
	v_dual_fmac_f32 v117, v162, v51 :: v_dual_fmac_f32 v58, v15, v141
	v_fma_f32 v128, v110, v118, -v49
	v_mul_f32_e32 v118, v116, v134
	v_mul_f32_e32 v49, v19, v134
	s_delay_alu instid0(VALU_DEP_2)
	v_dual_fmac_f32 v118, v19, v133 :: v_dual_mul_f32 v19, v17, v140
	ds_load_2addr_b32 v[16:17], v106 offset0:50 offset1:131
	v_mul_f32_e32 v115, v47, v138
	v_fma_f32 v110, v46, v139, -v19
	ds_load_2addr_b32 v[18:19], v107 offset0:92 offset1:173
	v_mul_f32_e32 v46, v12, v144
	s_wait_dscnt 0x2
	v_mul_f32_e32 v45, v20, v144
	s_delay_alu instid0(VALU_DEP_2) | instskip(NEXT) | instid1(VALU_DEP_2)
	v_fma_f32 v53, v20, v143, -v46
	v_dual_fmac_f32 v45, v12, v143 :: v_dual_mul_f32 v12, v13, v148
	v_fma_f32 v119, v116, v133, -v49
	s_delay_alu instid0(VALU_DEP_2) | instskip(SKIP_4) | instid1(VALU_DEP_2)
	v_fma_f32 v112, v21, v147, -v12
	s_wait_loadcnt_dscnt 0x101
	v_dual_mul_f32 v46, v16, v152 :: v_dual_mul_f32 v49, v131, v146
	v_dual_fmac_f32 v115, v14, v137 :: v_dual_mul_f32 v14, v15, v142
	s_wait_loadcnt 0x0
	v_dual_mul_f32 v47, v17, v156 :: v_dual_fmac_f32 v46, v8, v151
	s_delay_alu instid0(VALU_DEP_3)
	v_dual_fmac_f32 v49, v10, v145 :: v_dual_add_f32 v12, v169, v170
	v_mul_f32_e32 v10, v10, v146
	v_fma_f32 v116, v48, v141, -v14
	v_mul_f32_e32 v14, v11, v150
	s_wait_dscnt 0x0
	v_mul_f32_e32 v48, v18, v154
	v_mul_f32_e32 v11, v6, v154
	v_fma_f32 v55, v131, v145, -v10
	v_dual_mul_f32 v10, v8, v152 :: v_dual_fmac_f32 v47, v9, v155
	s_delay_alu instid0(VALU_DEP_4) | instskip(NEXT) | instid1(VALU_DEP_4)
	v_fmac_f32_e32 v48, v6, v153
	v_fma_f32 v6, v18, v153, -v11
	v_mul_f32_e32 v11, v7, v158
	s_delay_alu instid0(VALU_DEP_4)
	v_fma_f32 v8, v16, v151, -v10
	v_dual_mul_f32 v10, v9, v156 :: v_dual_mul_f32 v9, v19, v158
	v_fma_f32 v57, v132, v149, -v14
	v_add_f32_e32 v14, v114, v123
	ds_load_b32 v131, v109
	ds_load_b32 v142, v108
	v_fma_f32 v121, v17, v155, -v10
	v_fmac_f32_e32 v9, v7, v157
	v_fma_f32 v7, v19, v157, -v11
	v_sub_f32_e32 v11, v159, v161
	v_mul_f32_e32 v51, v21, v148
	v_lshlrev_b32_e32 v17, 2, v166
	v_add_f32_e32 v151, v127, v126
	s_delay_alu instid0(VALU_DEP_3)
	v_fmac_f32_e32 v51, v13, v147
	v_dual_add_f32 v13, v42, v169 :: v_dual_fmac_f32 v42, -0.5, v12
	ds_load_b32 v143, v38
	ds_load_b32 v144, v60
	;; [unrolled: 1-line block ×8, first 2 shown]
	global_wb scope:SCOPE_SE
	s_wait_dscnt 0x0
	s_barrier_signal -1
	v_add_f32_e32 v10, v13, v170
	v_fmamk_f32 v12, v11, 0xbf5db3d7, v42
	s_barrier_wait -1
	global_inv scope:SCOPE_SE
	v_fmac_f32_e32 v42, 0x3f5db3d7, v11
	v_lshlrev_b32_e32 v11, 2, v43
	ds_store_2addr_b32 v38, v10, v12 offset1:90
	v_add_f32_e32 v10, v113, v117
	s_wait_alu 0xf1ff
	v_cndmask_b32_e64 v12, 0, 0x438, s0
	v_add_f32_e32 v13, v41, v113
	ds_store_b32 v38, v42 offset:720
	v_sub_f32_e32 v113, v113, v117
	v_fmac_f32_e32 v41, -0.5, v10
	v_sub_f32_e32 v10, v127, v126
	v_add3_u32 v42, 0, v12, v11
	v_dual_add_f32 v11, v13, v117 :: v_dual_and_b32 v12, 0xffff, v28
	v_add_f32_e32 v127, v131, v127
	s_delay_alu instid0(VALU_DEP_4)
	v_fmamk_f32 v13, v10, 0xbf5db3d7, v41
	v_fmac_f32_e32 v41, 0x3f5db3d7, v10
	v_add_f32_e32 v10, v40, v114
	v_mul_u32_u24_e32 v12, 0x438, v12
	v_fmac_f32_e32 v40, -0.5, v14
	v_sub_f32_e32 v14, v128, v120
	v_lshlrev_b32_e32 v15, 2, v56
	ds_store_2addr_b32 v42, v11, v13 offset1:90
	ds_store_b32 v42, v41 offset:720
	v_add_f32_e32 v13, v39, v59
	v_add_f32_e32 v10, v10, v123
	v_fmamk_f32 v11, v14, 0xbf5db3d7, v40
	v_fmac_f32_e32 v40, 0x3f5db3d7, v14
	v_add3_u32 v41, 0, v12, v15
	v_add_f32_e32 v12, v59, v118
	v_mul_u32_u24_e32 v14, 0x438, v44
	v_lshlrev_b32_e32 v15, 2, v129
	ds_store_2addr_b32 v41, v10, v11 offset1:90
	ds_store_b32 v41, v40 offset:720
	v_dual_fmac_f32 v39, -0.5, v12 :: v_dual_sub_f32 v12, v124, v119
	v_add3_u32 v40, 0, v14, v15
	v_dual_add_f32 v10, v13, v118 :: v_dual_add_f32 v13, v52, v115
	v_mul_u32_u24_e32 v14, 0x438, v26
	s_delay_alu instid0(VALU_DEP_4)
	v_fmamk_f32 v11, v12, 0xbf5db3d7, v39
	v_fmac_f32_e32 v39, 0x3f5db3d7, v12
	v_dual_add_f32 v12, v37, v52 :: v_dual_lshlrev_b32 v15, 2, v130
	ds_store_2addr_b32 v40, v10, v11 offset1:90
	ds_store_b32 v40, v39 offset:720
	v_sub_f32_e32 v130, v169, v170
	v_add_f32_e32 v10, v12, v115
	v_add_f32_e32 v12, v50, v58
	v_add3_u32 v39, 0, v14, v15
	v_dual_add_f32 v15, v35, v50 :: v_dual_lshlrev_b32 v14, 2, v163
	v_fmac_f32_e32 v131, -0.5, v151
	s_delay_alu instid0(VALU_DEP_4)
	v_dual_fmac_f32 v35, -0.5, v12 :: v_dual_add_f32 v12, v45, v49
	v_fmac_f32_e32 v37, -0.5, v13
	v_sub_f32_e32 v13, v122, v111
	v_dual_add_f32 v117, v127, v126 :: v_dual_add_f32 v126, v128, v120
	v_fmamk_f32 v127, v113, 0x3f5db3d7, v131
	v_fmac_f32_e32 v131, 0xbf5db3d7, v113
	s_delay_alu instid0(VALU_DEP_4)
	v_fmamk_f32 v11, v13, 0xbf5db3d7, v37
	v_fmac_f32_e32 v37, 0x3f5db3d7, v13
	v_mul_u32_u24_e32 v13, 0x438, v27
	v_dual_add_f32 v113, v142, v128 :: v_dual_fmac_f32 v142, -0.5, v126
	ds_store_2addr_b32 v39, v10, v11 offset1:90
	ds_store_b32 v39, v37 offset:720
	v_add3_u32 v37, 0, v13, v14
	v_add_f32_e32 v10, v15, v58
	v_mul_u32_u24_e32 v13, 0x438, v29
	v_dual_add_f32 v15, v34, v45 :: v_dual_lshlrev_b32 v14, 2, v164
	v_fmac_f32_e32 v34, -0.5, v12
	v_add_f32_e32 v12, v51, v54
	v_sub_f32_e32 v114, v114, v123
	s_delay_alu instid0(VALU_DEP_4) | instskip(SKIP_1) | instid1(VALU_DEP_4)
	v_add3_u32 v43, 0, v13, v14
	v_sub_f32_e32 v13, v53, v55
	v_dual_add_f32 v14, v33, v51 :: v_dual_fmac_f32 v33, -0.5, v12
	v_dual_sub_f32 v12, v112, v57 :: v_dual_sub_f32 v11, v110, v116
	s_delay_alu instid0(VALU_DEP_3) | instskip(NEXT) | instid1(VALU_DEP_3)
	v_fmamk_f32 v18, v13, 0xbf5db3d7, v34
	v_dual_fmac_f32 v34, 0x3f5db3d7, v13 :: v_dual_add_f32 v13, v14, v54
	s_delay_alu instid0(VALU_DEP_3) | instskip(NEXT) | instid1(VALU_DEP_4)
	v_fmamk_f32 v14, v12, 0xbf5db3d7, v33
	v_fmamk_f32 v16, v11, 0xbf5db3d7, v35
	v_fmac_f32_e32 v35, 0x3f5db3d7, v11
	v_add_f32_e32 v11, v15, v49
	v_mul_u32_u24_e32 v15, 0x438, v125
	v_fmac_f32_e32 v33, 0x3f5db3d7, v12
	v_mul_u32_u24_e32 v12, 0x438, v165
	v_lshl_add_u32 v56, v168, 2, 0
	v_add_f32_e32 v113, v113, v120
	v_add3_u32 v44, 0, v15, v17
	ds_store_2addr_b32 v37, v10, v16 offset1:90
	ds_store_b32 v37, v35 offset:720
	ds_store_2addr_b32 v43, v11, v18 offset1:90
	ds_store_b32 v43, v34 offset:720
	ds_store_2addr_b32 v44, v13, v14 offset1:90
	v_dual_add_f32 v10, v46, v48 :: v_dual_lshlrev_b32 v13, 2, v167
	v_add_f32_e32 v11, v32, v46
	ds_store_b32 v44, v33 offset:720
	v_add_f32_e32 v14, v47, v9
	v_fmac_f32_e32 v32, -0.5, v10
	v_sub_f32_e32 v10, v8, v6
	v_add3_u32 v33, 0, v12, v13
	v_add_f32_e32 v13, v31, v47
	v_add_f32_e32 v11, v11, v48
	s_delay_alu instid0(VALU_DEP_4) | instskip(SKIP_1) | instid1(VALU_DEP_4)
	v_dual_fmac_f32 v31, -0.5, v14 :: v_dual_fmamk_f32 v12, v10, 0xbf5db3d7, v32
	v_fmac_f32_e32 v32, 0x3f5db3d7, v10
	v_add_f32_e32 v10, v13, v9
	v_dual_add_f32 v13, v159, v161 :: v_dual_sub_f32 v14, v121, v7
	ds_store_2addr_b32 v33, v11, v12 offset1:90
	v_dual_add_f32 v12, v143, v159 :: v_dual_add_nc_u32 v125, 0x2000, v56
	v_fmac_f32_e32 v143, -0.5, v13
	v_fmamk_f32 v11, v14, 0xbf5db3d7, v31
	v_fmac_f32_e32 v31, 0x3f5db3d7, v14
	s_delay_alu instid0(VALU_DEP_4)
	v_add_f32_e32 v129, v12, v161
	ds_store_b32 v33, v32 offset:720
	v_fmamk_f32 v152, v130, 0x3f5db3d7, v143
	v_fmac_f32_e32 v143, 0xbf5db3d7, v130
	ds_store_2addr_b32 v125, v10, v11 offset0:112 offset1:202
	ds_store_b32 v56, v31 offset:9360
	global_wb scope:SCOPE_SE
	s_wait_dscnt 0x0
	s_barrier_signal -1
	s_barrier_wait -1
	global_inv scope:SCOPE_SE
	ds_load_b32 v31, v109
	ds_load_b32 v29, v108
	;; [unrolled: 1-line block ×10, first 2 shown]
	ds_load_2addr_b32 v[34:35], v61 offset0:42 offset1:123
	ds_load_2addr_b32 v[132:133], v93 offset0:84 offset1:165
	;; [unrolled: 1-line block ×10, first 2 shown]
	global_wb scope:SCOPE_SE
	s_wait_dscnt 0x0
	s_barrier_signal -1
	s_barrier_wait -1
	global_inv scope:SCOPE_SE
	ds_store_2addr_b32 v38, v129, v152 offset1:90
	ds_store_b32 v38, v143 offset:720
	ds_store_2addr_b32 v42, v117, v127 offset1:90
	ds_store_b32 v42, v131 offset:720
	v_dual_add_f32 v42, v124, v119 :: v_dual_fmamk_f32 v117, v114, 0x3f5db3d7, v142
	v_fmac_f32_e32 v142, 0xbf5db3d7, v114
	v_add_f32_e32 v114, v144, v124
	ds_store_2addr_b32 v41, v113, v117 offset1:90
	ds_store_b32 v41, v142 offset:720
	v_fmac_f32_e32 v144, -0.5, v42
	v_dual_sub_f32 v42, v59, v118 :: v_dual_add_f32 v41, v122, v111
	v_add_f32_e32 v59, v114, v119
	v_sub_f32_e32 v9, v47, v9
	v_cmp_gt_u32_e64 s0, 27, v78
	s_delay_alu instid0(VALU_DEP_4)
	v_fmamk_f32 v113, v42, 0x3f5db3d7, v144
	v_fmac_f32_e32 v144, 0xbf5db3d7, v42
	v_dual_add_f32 v42, v145, v122 :: v_dual_fmac_f32 v145, -0.5, v41
	v_sub_f32_e32 v41, v52, v115
	ds_store_2addr_b32 v40, v59, v113 offset1:90
	ds_store_b32 v40, v144 offset:720
	v_add_f32_e32 v40, v110, v116
	v_add_f32_e32 v42, v42, v111
	v_fmamk_f32 v52, v41, 0x3f5db3d7, v145
	v_fmac_f32_e32 v145, 0xbf5db3d7, v41
	s_delay_alu instid0(VALU_DEP_4)
	v_dual_add_f32 v41, v146, v110 :: v_dual_fmac_f32 v146, -0.5, v40
	v_sub_f32_e32 v40, v50, v58
	ds_store_2addr_b32 v39, v42, v52 offset1:90
	ds_store_b32 v39, v145 offset:720
	v_dual_add_f32 v50, v147, v53 :: v_dual_add_f32 v39, v41, v116
	v_dual_add_f32 v41, v53, v55 :: v_dual_fmamk_f32 v42, v40, 0x3f5db3d7, v146
	v_fmac_f32_e32 v146, 0xbf5db3d7, v40
	v_dual_add_f32 v40, v112, v57 :: v_dual_add_nc_u32 v53, 0x6c, v2
	s_delay_alu instid0(VALU_DEP_3) | instskip(SKIP_2) | instid1(VALU_DEP_4)
	v_fmac_f32_e32 v147, -0.5, v41
	v_sub_f32_e32 v41, v45, v49
	v_add_f32_e32 v45, v148, v112
	v_fmac_f32_e32 v148, -0.5, v40
	v_dual_sub_f32 v40, v51, v54 :: v_dual_add_f32 v49, v50, v55
	s_delay_alu instid0(VALU_DEP_4)
	v_fmamk_f32 v50, v41, 0x3f5db3d7, v147
	v_fmac_f32_e32 v147, 0xbf5db3d7, v41
	v_dual_add_f32 v41, v45, v57 :: v_dual_mov_b32 v54, v3
	v_dual_add_f32 v45, v8, v6 :: v_dual_add_f32 v8, v149, v8
	v_fmamk_f32 v51, v40, 0x3f5db3d7, v148
	v_add_nc_u32_e32 v2, 0x10e, v2
	s_delay_alu instid0(VALU_DEP_3)
	v_dual_fmac_f32 v148, 0xbf5db3d7, v40 :: v_dual_fmac_f32 v149, -0.5, v45
	v_sub_f32_e32 v45, v46, v48
	v_add_f32_e32 v46, v150, v121
	v_add_f32_e32 v8, v8, v6
	v_lshlrev_b32_e32 v6, 1, v85
	v_mov_b32_e32 v48, v3
	ds_store_2addr_b32 v37, v39, v42 offset1:90
	ds_store_b32 v37, v146 offset:720
	ds_store_2addr_b32 v43, v49, v50 offset1:90
	ds_store_b32 v43, v147 offset:720
	ds_store_2addr_b32 v44, v41, v51 offset1:90
	v_mul_lo_u16 v37, 0x10e, v24
	v_lshlrev_b64_e32 v[110:111], 3, v[2:3]
	v_add_f32_e32 v40, v121, v7
	s_delay_alu instid0(VALU_DEP_3) | instskip(NEXT) | instid1(VALU_DEP_1)
	v_sub_nc_u16 v2, v89, v37
	v_dual_fmac_f32 v150, -0.5, v40 :: v_dual_and_b32 v37, 0xffff, v2
	v_mul_u32_u24_e32 v2, 0x795d, v25
	s_delay_alu instid0(VALU_DEP_1) | instskip(NEXT) | instid1(VALU_DEP_1)
	v_lshrrev_b32_e32 v2, 23, v2
	v_mul_lo_u16 v2, 0x10e, v2
	s_delay_alu instid0(VALU_DEP_1) | instskip(NEXT) | instid1(VALU_DEP_1)
	v_sub_nc_u16 v2, v91, v2
	v_and_b32_e32 v146, 0xffff, v2
	v_fmamk_f32 v40, v45, 0x3f5db3d7, v149
	v_fmac_f32_e32 v149, 0xbf5db3d7, v45
	v_dual_add_f32 v45, v46, v7 :: v_dual_fmamk_f32 v46, v9, 0x3f5db3d7, v150
	v_fmac_f32_e32 v150, 0xbf5db3d7, v9
	ds_store_b32 v44, v148 offset:720
	ds_store_2addr_b32 v33, v8, v40 offset1:90
	ds_store_b32 v33, v149 offset:720
	ds_store_2addr_b32 v125, v45, v46 offset0:112 offset1:202
	v_dual_mov_b32 v9, v3 :: v_dual_lshlrev_b32 v8, 1, v84
	v_subrev_nc_u32_e32 v33, 27, v78
	ds_store_b32 v56, v150 offset:9360
	global_wb scope:SCOPE_SE
	s_wait_dscnt 0x0
	s_barrier_signal -1
	s_barrier_wait -1
	global_inv scope:SCOPE_SE
	global_load_b128 v[39:42], v[4:5], off offset:2080
	v_mov_b32_e32 v7, v3
	v_lshlrev_b64_e32 v[43:44], 3, v[8:9]
	s_wait_alu 0xf1ff
	v_cndmask_b32_e64 v33, v33, v86, s0
	v_lshlrev_b64_e32 v[55:56], 3, v[53:54]
	v_lshlrev_b32_e32 v2, 4, v146
	v_lshlrev_b64_e32 v[6:7], 3, v[6:7]
	s_delay_alu instid0(VALU_DEP_1) | instskip(SKIP_1) | instid1(VALU_DEP_2)
	v_add_co_u32 v8, s0, s4, v6
	s_wait_alu 0xf1ff
	v_add_co_ci_u32_e64 v9, s0, s5, v7, s0
	v_add_co_u32 v6, s0, s4, v43
	s_wait_alu 0xf1ff
	v_add_co_ci_u32_e64 v7, s0, s5, v44, s0
	global_load_b128 v[43:46], v[8:9], off offset:2080
	v_lshlrev_b32_e32 v47, 1, v33
	s_delay_alu instid0(VALU_DEP_1)
	v_lshlrev_b64_e32 v[51:52], 3, v[47:48]
	global_load_b128 v[47:50], v[6:7], off offset:2080
	v_lshlrev_b32_e32 v25, 4, v37
	v_add_co_u32 v51, s0, s4, v51
	s_wait_alu 0xf1ff
	v_add_co_ci_u32_e64 v52, s0, s5, v52, s0
	v_add_co_u32 v55, s0, s4, v55
	s_wait_alu 0xf1ff
	v_add_co_ci_u32_e64 v56, s0, s5, v56, s0
	;; [unrolled: 3-line block ×3, first 2 shown]
	s_clause 0x3
	global_load_b128 v[51:54], v[51:52], off offset:2080
	global_load_b128 v[55:58], v[55:56], off offset:2080
	global_load_b128 v[116:119], v25, s[4:5] offset:2080
	global_load_b128 v[112:115], v[110:111], off offset:2080
	v_and_b32_e32 v25, 0xffff, v22
	v_mul_lo_u16 v22, 0x10e, v23
	v_cmp_lt_u32_e64 s0, 26, v78
	s_delay_alu instid0(VALU_DEP_3) | instskip(NEXT) | instid1(VALU_DEP_3)
	v_lshlrev_b32_e32 v23, 4, v25
	v_sub_nc_u16 v22, v92, v22
	global_load_b128 v[120:123], v23, s[4:5] offset:2080
	v_and_b32_e32 v147, 0xffff, v22
	s_delay_alu instid0(VALU_DEP_1)
	v_lshlrev_b32_e32 v22, 4, v147
	s_clause 0x1
	global_load_b128 v[124:127], v2, s[4:5] offset:2080
	global_load_b128 v[128:131], v22, s[4:5] offset:2080
	ds_load_2addr_b32 v[22:23], v61 offset0:42 offset1:123
	ds_load_2addr_b32 v[110:111], v93 offset0:84 offset1:165
	;; [unrolled: 1-line block ×4, first 2 shown]
	s_wait_loadcnt_dscnt 0x903
	v_mul_f32_e32 v148, v22, v40
	v_mul_f32_e32 v2, v34, v40
	;; [unrolled: 1-line block ×3, first 2 shown]
	s_wait_dscnt 0x2
	v_mul_f32_e32 v149, v110, v42
	v_fmac_f32_e32 v148, v34, v39
	v_fma_f32 v150, v22, v39, -v2
	v_fma_f32 v152, v110, v41, -v40
	s_wait_loadcnt 0x8
	v_mul_f32_e32 v151, v23, v44
	v_mul_f32_e32 v2, v35, v44
	;; [unrolled: 1-line block ×4, first 2 shown]
	s_delay_alu instid0(VALU_DEP_4)
	v_fmac_f32_e32 v151, v35, v43
	ds_load_2addr_b32 v[34:35], v99 offset0:110 offset1:191
	s_wait_loadcnt_dscnt 0x701
	v_mul_f32_e32 v156, v144, v50
	v_mul_f32_e32 v39, v136, v50
	v_fma_f32 v43, v23, v43, -v2
	v_fma_f32 v154, v111, v45, -v22
	ds_load_2addr_b32 v[22:23], v100 offset0:152 offset1:233
	v_fmac_f32_e32 v156, v136, v49
	v_fma_f32 v136, v144, v49, -v39
	ds_load_2addr_b32 v[39:40], v103 offset0:16 offset1:97
	v_mul_f32_e32 v155, v142, v48
	v_mul_f32_e32 v2, v134, v48
	s_delay_alu instid0(VALU_DEP_2) | instskip(NEXT) | instid1(VALU_DEP_2)
	v_fmac_f32_e32 v155, v134, v47
	v_fma_f32 v134, v142, v47, -v2
	s_wait_loadcnt 0x6
	v_mul_f32_e32 v2, v135, v52
	v_mul_f32_e32 v44, v137, v54
	s_delay_alu instid0(VALU_DEP_3)
	v_add_f32_e32 v144, v134, v136
	s_wait_loadcnt 0x3
	v_mul_f32_e32 v46, v139, v113
	v_fmac_f32_e32 v149, v132, v41
	ds_load_2addr_b32 v[41:42], v104 offset0:58 offset1:139
	v_mul_f32_e32 v59, v143, v52
	v_fma_f32 v142, v143, v51, -v2
	s_wait_dscnt 0x3
	v_dual_mul_f32 v2, v138, v56 :: v_dual_mul_f32 v49, v35, v113
	v_lshl_add_u32 v143, v147, 2, 0
	s_delay_alu instid0(VALU_DEP_2)
	v_fma_f32 v111, v34, v55, -v2
	s_wait_loadcnt_dscnt 0x201
	v_dual_mul_f32 v50, v40, v121 :: v_dual_fmac_f32 v59, v135, v51
	v_mul_f32_e32 v135, v145, v54
	v_fmac_f32_e32 v49, v139, v112
	v_fma_f32 v112, v35, v112, -v46
	v_mul_f32_e32 v2, v39, v117
	v_fmac_f32_e32 v50, v17, v120
	v_fmac_f32_e32 v135, v137, v53
	v_fma_f32 v137, v145, v53, -v44
	v_mul_f32_e32 v44, v140, v58
	v_fmac_f32_e32 v2, v16, v116
	s_wait_dscnt 0x0
	v_mul_f32_e32 v54, v42, v123
	s_delay_alu instid0(VALU_DEP_3) | instskip(SKIP_2) | instid1(VALU_DEP_4)
	v_fma_f32 v110, v22, v57, -v44
	v_mul_f32_e32 v44, v16, v117
	v_fmac_f32_e32 v153, v133, v45
	v_dual_mul_f32 v45, v34, v56 :: v_dual_fmac_f32 v54, v15, v122
	ds_load_2addr_b32 v[34:35], v106 offset0:50 offset1:131
	ds_load_2addr_b32 v[132:133], v107 offset0:92 offset1:173
	v_dual_mul_f32 v51, v22, v58 :: v_dual_mul_f32 v22, v141, v115
	v_mul_f32_e32 v47, v41, v119
	v_fma_f32 v53, v39, v116, -v44
	v_dual_mul_f32 v16, v17, v121 :: v_dual_fmac_f32 v45, v138, v55
	s_delay_alu instid0(VALU_DEP_1)
	v_fma_f32 v58, v40, v120, -v16
	v_add_f32_e32 v16, v29, v155
	s_wait_loadcnt_dscnt 0x1
	v_mul_f32_e32 v44, v35, v129
	s_wait_dscnt 0x0
	v_mul_f32_e32 v46, v132, v127
	v_fmac_f32_e32 v51, v140, v57
	v_dual_mul_f32 v57, v23, v115 :: v_dual_mul_f32 v40, v34, v125
	v_fmac_f32_e32 v44, v13, v128
	s_delay_alu instid0(VALU_DEP_4) | instskip(NEXT) | instid1(VALU_DEP_3)
	v_dual_fmac_f32 v46, v10, v126 :: v_dual_mul_f32 v113, v133, v131
	v_fmac_f32_e32 v57, v141, v114
	v_fma_f32 v114, v23, v114, -v22
	v_mul_f32_e32 v22, v15, v123
	v_dual_mul_f32 v15, v10, v127 :: v_dual_add_f32 v10, v148, v149
	v_fmac_f32_e32 v47, v14, v118
	v_mul_f32_e32 v14, v14, v119
	v_fmac_f32_e32 v40, v12, v124
	v_fma_f32 v56, v42, v122, -v22
	s_wait_alu 0xf1ff
	v_cndmask_b32_e64 v23, 0, 0xca8, s0
	v_lshl_add_u32 v140, v25, 2, 0
	v_fma_f32 v55, v41, v118, -v14
	v_mul_f32_e32 v14, v12, v125
	v_dual_mul_f32 v12, v13, v129 :: v_dual_add_f32 v17, v28, v59
	v_lshl_add_u32 v141, v146, 2, 0
	s_delay_alu instid0(VALU_DEP_3)
	v_fma_f32 v52, v34, v124, -v14
	v_add_f32_e32 v14, v32, v148
	v_fmac_f32_e32 v32, -0.5, v10
	v_fma_f32 v48, v132, v126, -v15
	v_dual_sub_f32 v10, v150, v152 :: v_dual_mul_f32 v13, v11, v131
	v_fmac_f32_e32 v113, v11, v130
	v_add_f32_e32 v11, v151, v153
	v_add_f32_e32 v15, v59, v135
	v_fma_f32 v115, v35, v128, -v12
	v_fmamk_f32 v12, v10, 0xbf5db3d7, v32
	v_fma_f32 v116, v133, v130, -v13
	v_dual_fmac_f32 v32, 0x3f5db3d7, v10 :: v_dual_add_f32 v13, v155, v156
	v_fmac_f32_e32 v28, -0.5, v15
	v_add_f32_e32 v10, v31, v151
	v_dual_fmac_f32 v31, -0.5, v11 :: v_dual_add_f32 v14, v14, v149
	v_sub_f32_e32 v15, v142, v137
	ds_load_b32 v117, v109
	ds_load_b32 v118, v108
	;; [unrolled: 1-line block ×10, first 2 shown]
	global_wb scope:SCOPE_SE
	s_wait_dscnt 0x0
	s_barrier_signal -1
	s_barrier_wait -1
	global_inv scope:SCOPE_SE
	ds_store_b32 v38, v14
	ds_store_b32 v38, v12 offset:1080
	ds_store_b32 v38, v32 offset:2160
	v_dual_add_f32 v12, v16, v156 :: v_dual_sub_f32 v11, v43, v154
	v_fmac_f32_e32 v29, -0.5, v13
	v_sub_f32_e32 v13, v134, v136
	v_add_f32_e32 v10, v10, v153
	v_lshl_add_u32 v16, v78, 2, 0
	v_fmamk_f32 v22, v11, 0xbf5db3d7, v31
	v_fmac_f32_e32 v31, 0x3f5db3d7, v11
	v_fmamk_f32 v11, v13, 0xbf5db3d7, v29
	v_fmac_f32_e32 v29, 0x3f5db3d7, v13
	v_fmamk_f32 v13, v15, 0xbf5db3d7, v28
	ds_store_b32 v109, v10
	ds_store_b32 v109, v22 offset:1080
	ds_store_b32 v109, v31 offset:2160
	ds_store_b32 v108, v12
	ds_store_b32 v108, v11 offset:1080
	ds_store_b32 v108, v29 offset:2160
	v_add_f32_e32 v10, v45, v51
	v_fmac_f32_e32 v28, 0x3f5db3d7, v15
	v_add_f32_e32 v12, v26, v45
	v_lshlrev_b32_e32 v15, 2, v33
	v_dual_add_f32 v11, v49, v57 :: v_dual_add_nc_u32 v128, 0xc00, v16
	v_fmac_f32_e32 v26, -0.5, v10
	v_sub_f32_e32 v10, v111, v110
	v_add_f32_e32 v12, v12, v51
	v_add3_u32 v127, 0, v23, v15
	v_dual_add_f32 v15, v27, v49 :: v_dual_add_f32 v14, v17, v135
	v_dual_fmac_f32 v27, -0.5, v11 :: v_dual_add_nc_u32 v130, 0x1400, v16
	v_sub_f32_e32 v11, v112, v114
	v_fmamk_f32 v17, v10, 0xbf5db3d7, v26
	v_fmac_f32_e32 v26, 0x3f5db3d7, v10
	v_dual_add_f32 v10, v150, v152 :: v_dual_add_f32 v15, v15, v57
	s_delay_alu instid0(VALU_DEP_4)
	v_fmamk_f32 v22, v11, 0xbf5db3d7, v27
	v_add_nc_u32_e32 v129, 0x1000, v16
	v_fmac_f32_e32 v27, 0x3f5db3d7, v11
	ds_store_b32 v127, v14
	ds_store_b32 v127, v13 offset:1080
	ds_store_b32 v127, v28 offset:2160
	ds_store_2addr_b32 v128, v12, v15 offset0:96 offset1:177
	v_add_f32_e32 v11, v43, v154
	v_add_f32_e32 v12, v119, v150
	v_dual_fmac_f32 v119, -0.5, v10 :: v_dual_sub_f32 v10, v148, v149
	v_add_f32_e32 v13, v117, v43
	v_add_f32_e32 v15, v40, v46
	s_delay_alu instid0(VALU_DEP_4) | instskip(NEXT) | instid1(VALU_DEP_4)
	v_dual_add_f32 v131, v12, v152 :: v_dual_add_f32 v12, v50, v54
	v_fmamk_f32 v132, v10, 0x3f5db3d7, v119
	v_dual_fmac_f32 v119, 0xbf5db3d7, v10 :: v_dual_add_f32 v10, v2, v47
	v_fmac_f32_e32 v117, -0.5, v11
	v_dual_sub_f32 v11, v151, v153 :: v_dual_add_f32 v14, v20, v50
	v_fmac_f32_e32 v20, -0.5, v12
	v_sub_f32_e32 v12, v58, v56
	ds_store_2addr_b32 v129, v17, v22 offset0:110 offset1:191
	ds_store_2addr_b32 v130, v26, v27 offset0:124 offset1:205
	v_dual_fmamk_f32 v138, v11, 0x3f5db3d7, v117 :: v_dual_add_f32 v133, v13, v154
	v_add_f32_e32 v13, v21, v2
	v_dual_fmac_f32 v21, -0.5, v10 :: v_dual_sub_f32 v10, v53, v55
	v_dual_fmac_f32 v117, 0xbf5db3d7, v11 :: v_dual_sub_f32 v16, v52, v48
	v_add_f32_e32 v17, v19, v44
	v_mul_u32_u24_e32 v22, 0xca8, v24
	s_delay_alu instid0(VALU_DEP_4)
	v_fmamk_f32 v11, v10, 0xbf5db3d7, v21
	v_fmac_f32_e32 v21, 0x3f5db3d7, v10
	v_fmamk_f32 v10, v12, 0xbf5db3d7, v20
	v_fmac_f32_e32 v20, 0x3f5db3d7, v12
	v_add_f32_e32 v12, v18, v40
	v_dual_fmac_f32 v18, -0.5, v15 :: v_dual_add_f32 v15, v44, v113
	v_dual_add_f32 v14, v14, v54 :: v_dual_add_f32 v13, v13, v47
	s_delay_alu instid0(VALU_DEP_2) | instskip(NEXT) | instid1(VALU_DEP_3)
	v_dual_sub_f32 v59, v59, v135 :: v_dual_fmamk_f32 v24, v16, 0xbf5db3d7, v18
	v_fmac_f32_e32 v19, -0.5, v15
	v_sub_f32_e32 v15, v115, v116
	v_dual_fmac_f32 v18, 0x3f5db3d7, v16 :: v_dual_lshlrev_b32 v23, 2, v37
	v_sub_f32_e32 v2, v2, v47
	s_delay_alu instid0(VALU_DEP_3) | instskip(NEXT) | instid1(VALU_DEP_3)
	v_dual_sub_f32 v47, v50, v54 :: v_dual_fmamk_f32 v16, v15, 0xbf5db3d7, v19
	v_add3_u32 v139, 0, v22, v23
	ds_store_b32 v139, v13
	ds_store_b32 v139, v11 offset:1080
	ds_store_b32 v139, v21 offset:2160
	v_add_f32_e32 v11, v12, v46
	v_dual_fmac_f32 v19, 0x3f5db3d7, v15 :: v_dual_add_f32 v12, v17, v113
	ds_store_b32 v140, v14 offset:6480
	ds_store_b32 v140, v10 offset:7560
	;; [unrolled: 1-line block ×9, first 2 shown]
	global_wb scope:SCOPE_SE
	s_wait_dscnt 0x0
	s_barrier_signal -1
	s_barrier_wait -1
	global_inv scope:SCOPE_SE
	ds_load_b32 v43, v109
	ds_load_b32 v37, v108
	;; [unrolled: 1-line block ×10, first 2 shown]
	ds_load_2addr_b32 v[26:27], v61 offset0:42 offset1:123
	ds_load_2addr_b32 v[28:29], v93 offset0:84 offset1:165
	ds_load_2addr_b32 v[10:11], v95 offset0:76 offset1:157
	ds_load_2addr_b32 v[12:13], v96 offset0:118 offset1:199
	ds_load_2addr_b32 v[14:15], v99 offset0:110 offset1:191
	ds_load_2addr_b32 v[16:17], v100 offset0:152 offset1:233
	ds_load_2addr_b32 v[18:19], v103 offset0:16 offset1:97
	ds_load_2addr_b32 v[20:21], v104 offset0:58 offset1:139
	ds_load_2addr_b32 v[22:23], v106 offset0:50 offset1:131
	ds_load_2addr_b32 v[24:25], v107 offset0:92 offset1:173
	global_wb scope:SCOPE_SE
	s_wait_dscnt 0x0
	s_barrier_signal -1
	s_barrier_wait -1
	global_inv scope:SCOPE_SE
	ds_store_b32 v38, v131
	ds_store_b32 v38, v132 offset:1080
	ds_store_b32 v38, v119 offset:2160
	v_add_f32_e32 v119, v118, v134
	ds_store_b32 v109, v133
	ds_store_b32 v109, v138 offset:1080
	ds_store_b32 v109, v117 offset:2160
	v_dual_add_f32 v109, v142, v137 :: v_dual_fmac_f32 v118, -0.5, v144
	v_sub_f32_e32 v49, v49, v57
	v_add_f32_e32 v117, v119, v136
	s_delay_alu instid0(VALU_DEP_3) | instskip(SKIP_3) | instid1(VALU_DEP_3)
	v_dual_add_f32 v119, v120, v142 :: v_dual_fmac_f32 v120, -0.5, v109
	v_sub_f32_e32 v131, v155, v156
	v_dual_sub_f32 v45, v45, v51 :: v_dual_sub_f32 v40, v40, v46
	v_sub_f32_e32 v44, v44, v113
	v_fmamk_f32 v132, v131, 0x3f5db3d7, v118
	v_fmac_f32_e32 v118, 0xbf5db3d7, v131
	ds_store_b32 v108, v117
	ds_store_b32 v108, v132 offset:1080
	ds_store_b32 v108, v118 offset:2160
	v_add_f32_e32 v108, v121, v111
	v_dual_add_f32 v118, v122, v112 :: v_dual_add_f32 v109, v119, v137
	v_add_f32_e32 v111, v111, v110
	s_delay_alu instid0(VALU_DEP_1) | instskip(NEXT) | instid1(VALU_DEP_1)
	v_fmac_f32_e32 v121, -0.5, v111
	v_fmamk_f32 v51, v45, 0x3f5db3d7, v121
	v_fmac_f32_e32 v121, 0xbf5db3d7, v45
	v_add_f32_e32 v45, v53, v55
	v_add_f32_e32 v53, v123, v53
	s_delay_alu instid0(VALU_DEP_2) | instskip(SKIP_3) | instid1(VALU_DEP_4)
	v_fmac_f32_e32 v123, -0.5, v45
	v_fmamk_f32 v117, v59, 0x3f5db3d7, v120
	v_dual_fmac_f32 v120, 0xbf5db3d7, v59 :: v_dual_add_f32 v59, v108, v110
	v_add_f32_e32 v108, v112, v114
	v_dual_add_f32 v45, v124, v58 :: v_dual_fmamk_f32 v50, v2, 0x3f5db3d7, v123
	v_fmac_f32_e32 v123, 0xbf5db3d7, v2
	v_add_f32_e32 v110, v118, v114
	s_delay_alu instid0(VALU_DEP_4) | instskip(NEXT) | instid1(VALU_DEP_4)
	v_fmac_f32_e32 v122, -0.5, v108
	v_add_f32_e32 v2, v45, v56
	v_add_f32_e32 v45, v52, v48
	;; [unrolled: 1-line block ×3, first 2 shown]
	ds_store_b32 v127, v109
	ds_store_b32 v127, v117 offset:1080
	ds_store_b32 v127, v120 offset:2160
	v_fmamk_f32 v57, v49, 0x3f5db3d7, v122
	v_dual_fmac_f32 v122, 0xbf5db3d7, v49 :: v_dual_add_f32 v49, v58, v56
	v_dual_add_f32 v46, v52, v48 :: v_dual_fmac_f32 v125, -0.5, v45
	s_delay_alu instid0(VALU_DEP_2) | instskip(SKIP_4) | instid1(VALU_DEP_1)
	v_dual_add_f32 v45, v126, v115 :: v_dual_fmac_f32 v124, -0.5, v49
	v_add_f32_e32 v49, v53, v55
	ds_store_2addr_b32 v128, v59, v110 offset0:96 offset1:177
	v_fmamk_f32 v53, v47, 0x3f5db3d7, v124
	v_dual_fmac_f32 v124, 0xbf5db3d7, v47 :: v_dual_add_f32 v47, v115, v116
	v_dual_fmac_f32 v126, -0.5, v47 :: v_dual_fmamk_f32 v47, v40, 0x3f5db3d7, v125
	v_fmac_f32_e32 v125, 0xbf5db3d7, v40
	s_delay_alu instid0(VALU_DEP_2)
	v_dual_add_f32 v40, v45, v116 :: v_dual_fmamk_f32 v45, v44, 0x3f5db3d7, v126
	v_fmac_f32_e32 v126, 0xbf5db3d7, v44
	ds_store_2addr_b32 v129, v51, v57 offset0:110 offset1:191
	ds_store_2addr_b32 v130, v121, v122 offset0:124 offset1:205
	ds_store_b32 v139, v49
	ds_store_b32 v139, v50 offset:1080
	ds_store_b32 v139, v123 offset:2160
	;; [unrolled: 1-line block ×11, first 2 shown]
	global_wb scope:SCOPE_SE
	s_wait_dscnt 0x0
	s_barrier_signal -1
	s_barrier_wait -1
	global_inv scope:SCOPE_SE
	s_and_saveexec_b32 s0, vcc_lo
	s_cbranch_execz .LBB0_15
; %bb.14:
	v_lshlrev_b32_e32 v2, 1, v92
	s_clause 0x1
	global_load_b128 v[44:47], v[8:9], off offset:6400
	global_load_b128 v[48:51], v[4:5], off offset:6400
	v_mad_co_u64_u32 v[134:135], null, s8, v75, 0
	v_mul_i32_i24_e32 v136, 0xffffffdc, v84
	v_lshlrev_b64_e32 v[4:5], 3, v[2:3]
	v_lshlrev_b32_e32 v2, 1, v91
	v_mad_co_u64_u32 v[132:133], null, s8, v79, 0
	v_mad_co_u64_u32 v[128:129], null, s8, v80, 0
	s_delay_alu instid0(VALU_DEP_3) | instskip(SKIP_4) | instid1(VALU_DEP_4)
	v_lshlrev_b64_e32 v[8:9], 3, v[2:3]
	v_add_co_u32 v4, vcc_lo, s4, v4
	s_wait_alu 0xfffd
	v_add_co_ci_u32_e32 v5, vcc_lo, s5, v5, vcc_lo
	v_lshlrev_b32_e32 v2, 1, v90
	v_add_co_u32 v8, vcc_lo, s4, v8
	s_wait_alu 0xfffd
	v_add_co_ci_u32_e32 v9, vcc_lo, s5, v9, vcc_lo
	global_load_b128 v[52:55], v[4:5], off offset:6400
	v_mad_co_u64_u32 v[130:131], null, s8, v76, 0
	global_load_b128 v[56:59], v[8:9], off offset:6400
	v_lshlrev_b64_e32 v[8:9], 3, v[2:3]
	v_lshlrev_b32_e32 v2, 1, v89
	s_delay_alu instid0(VALU_DEP_2) | instskip(SKIP_1) | instid1(VALU_DEP_3)
	v_add_co_u32 v8, vcc_lo, s4, v8
	s_wait_alu 0xfffd
	v_add_co_ci_u32_e32 v9, vcc_lo, s5, v9, vcc_lo
	global_load_b128 v[108:111], v[8:9], off offset:6400
	v_lshlrev_b64_e32 v[8:9], 3, v[2:3]
	v_lshlrev_b32_e32 v2, 1, v88
	v_mul_i32_i24_e32 v88, 0xffffffdc, v85
	s_delay_alu instid0(VALU_DEP_3) | instskip(SKIP_1) | instid1(VALU_DEP_4)
	v_add_co_u32 v8, vcc_lo, s4, v8
	s_wait_alu 0xfffd
	v_add_co_ci_u32_e32 v9, vcc_lo, s5, v9, vcc_lo
	global_load_b128 v[89:92], v[8:9], off offset:6400
	v_lshlrev_b64_e32 v[8:9], 3, v[2:3]
	v_lshlrev_b32_e32 v2, 1, v87
	s_delay_alu instid0(VALU_DEP_2) | instskip(SKIP_1) | instid1(VALU_DEP_3)
	v_add_co_u32 v8, vcc_lo, s4, v8
	s_wait_alu 0xfffd
	v_add_co_ci_u32_e32 v9, vcc_lo, s5, v9, vcc_lo
	global_load_b128 v[112:115], v[8:9], off offset:6400
	v_lshlrev_b64_e32 v[8:9], 3, v[2:3]
	v_lshlrev_b32_e32 v2, 1, v86
	s_delay_alu instid0(VALU_DEP_1) | instskip(NEXT) | instid1(VALU_DEP_3)
	v_lshlrev_b64_e32 v[2:3], 3, v[2:3]
	v_add_co_u32 v8, vcc_lo, s4, v8
	s_wait_alu 0xfffd
	s_delay_alu instid0(VALU_DEP_4) | instskip(NEXT) | instid1(VALU_DEP_3)
	v_add_co_ci_u32_e32 v9, vcc_lo, s5, v9, vcc_lo
	v_add_co_u32 v2, vcc_lo, s4, v2
	s_wait_alu 0xfffd
	v_add_co_ci_u32_e32 v3, vcc_lo, s5, v3, vcc_lo
	s_clause 0x2
	global_load_b128 v[116:119], v[8:9], off offset:6400
	global_load_b128 v[120:123], v[2:3], off offset:6400
	global_load_b128 v[4:7], v[6:7], off offset:6400
	ds_load_2addr_b32 v[2:3], v106 offset0:50 offset1:131
	ds_load_2addr_b32 v[8:9], v107 offset0:92 offset1:173
	;; [unrolled: 1-line block ×10, first 2 shown]
	ds_load_b32 v140, v105
	ds_load_b32 v141, v102
	;; [unrolled: 1-line block ×8, first 2 shown]
	v_mad_co_u64_u32 v[60:61], null, s8, v78, 0
	v_mad_co_u64_u32 v[101:102], null, s8, v82, 0
	;; [unrolled: 1-line block ×3, first 2 shown]
	v_add_nc_u32_e32 v136, v36, v136
	v_add_co_u32 v38, vcc_lo, s10, v0
	v_dual_mov_b32 v30, v61 :: v_dual_add_nc_u32 v137, v30, v88
	s_wait_alu 0xfffd
	v_add_co_ci_u32_e32 v40, vcc_lo, s11, v1, vcc_lo
	v_mad_co_u64_u32 v[0:1], null, s8, v81, 0
	v_mad_co_u64_u32 v[97:98], null, s8, v77, 0
	v_mov_b32_e32 v88, v102
	v_mov_b32_e32 v102, v133
	ds_load_b32 v133, v136
	ds_load_b32 v148, v137
	v_dual_mov_b32 v36, v94 :: v_dual_mov_b32 v105, v135
	v_mad_co_u64_u32 v[135:136], null, s9, v78, v[30:31]
	v_mov_b32_e32 v61, v98
	s_wait_dscnt 0x13
	v_mad_co_u64_u32 v[136:137], null, s9, v81, v[1:2]
	v_mad_co_u64_u32 v[137:138], null, s9, v83, v[36:37]
	v_mov_b32_e32 v94, v129
	v_mad_co_u64_u32 v[77:78], null, s9, v77, v[61:62]
	v_mov_b32_e32 v61, v135
	v_dual_mov_b32 v1, v136 :: v_dual_mov_b32 v98, v131
	s_delay_alu instid0(VALU_DEP_2) | instskip(NEXT) | instid1(VALU_DEP_2)
	v_lshlrev_b64_e32 v[60:61], 3, v[60:61]
	v_lshlrev_b64_e32 v[0:1], 3, v[0:1]
	s_delay_alu instid0(VALU_DEP_2) | instskip(SKIP_1) | instid1(VALU_DEP_3)
	v_add_co_u32 v60, vcc_lo, v38, v60
	s_wait_alu 0xfffd
	v_add_co_ci_u32_e32 v61, vcc_lo, v40, v61, vcc_lo
	s_delay_alu instid0(VALU_DEP_3)
	v_add_co_u32 v0, vcc_lo, v38, v0
	s_wait_alu 0xfffd
	v_add_co_ci_u32_e32 v1, vcc_lo, v40, v1, vcc_lo
	s_wait_loadcnt 0x9
	v_mul_f32_e32 v36, v29, v47
	s_wait_dscnt 0xa
	v_mul_f32_e32 v47, v127, v47
	v_mul_f32_e32 v30, v27, v45
	;; [unrolled: 1-line block ×3, first 2 shown]
	v_fma_f32 v36, v46, v127, -v36
	s_delay_alu instid0(VALU_DEP_4) | instskip(NEXT) | instid1(VALU_DEP_4)
	v_fmac_f32_e32 v47, v29, v46
	v_fma_f32 v30, v44, v125, -v30
	s_delay_alu instid0(VALU_DEP_4)
	v_fmac_f32_e32 v45, v27, v44
	s_wait_loadcnt 0x4
	v_mad_co_u64_u32 v[81:82], null, s9, v82, v[88:89]
	v_mad_co_u64_u32 v[82:83], null, s9, v80, v[94:95]
	v_dual_mul_f32 v83, v26, v49 :: v_dual_mul_f32 v88, v28, v51
	v_mul_f32_e32 v49, v124, v49
	v_dual_mul_f32 v51, v126, v51 :: v_dual_mov_b32 v94, v137
	v_mad_co_u64_u32 v[138:139], null, s9, v76, v[98:99]
	v_mov_b32_e32 v98, v77
	v_fma_f32 v27, v48, v124, -v83
	v_fma_f32 v44, v50, v126, -v88
	v_fmac_f32_e32 v49, v26, v48
	v_mad_co_u64_u32 v[78:79], null, s9, v79, v[102:103]
	v_dual_mov_b32 v102, v81 :: v_dual_fmac_f32 v51, v28, v50
	v_add_f32_e32 v26, v30, v36
	s_wait_dscnt 0x0
	v_add_f32_e32 v28, v148, v30
	v_lshlrev_b64_e32 v[76:77], 3, v[93:94]
	v_mov_b32_e32 v129, v82
	v_lshlrev_b64_e32 v[81:82], 3, v[101:102]
	v_add_f32_e32 v101, v49, v51
	v_dual_sub_f32 v46, v45, v47 :: v_dual_add_f32 v29, v28, v36
	v_dual_add_f32 v48, v45, v47 :: v_dual_add_f32 v45, v43, v45
	v_lshlrev_b64_e32 v[79:80], 3, v[97:98]
	v_dual_add_f32 v50, v27, v44 :: v_dual_sub_f32 v83, v49, v51
	v_add_f32_e32 v88, v147, v27
	v_dual_sub_f32 v102, v27, v44 :: v_dual_add_f32 v49, v42, v49
	v_fma_f32 v27, -0.5, v26, v148
	v_add_co_u32 v76, vcc_lo, v38, v76
	s_wait_alu 0xfffd
	v_add_co_ci_u32_e32 v77, vcc_lo, v40, v77, vcc_lo
	v_sub_f32_e32 v30, v30, v36
	v_fma_f32 v26, -0.5, v48, v43
	v_fma_f32 v43, -0.5, v50, v147
	v_add_f32_e32 v28, v45, v47
	v_fma_f32 v42, -0.5, v101, v42
	v_mul_f32_e32 v36, v23, v53
	v_dual_mul_f32 v50, v25, v55 :: v_dual_fmamk_f32 v47, v46, 0xbf5db3d7, v27
	v_dual_add_f32 v45, v88, v44 :: v_dual_add_f32 v44, v49, v51
	v_mul_f32_e32 v51, v3, v53
	v_mul_f32_e32 v53, v9, v55
	s_wait_loadcnt 0x0
	v_dual_mul_f32 v55, v10, v5 :: v_dual_mul_f32 v88, v12, v7
	v_mul_f32_e32 v5, v106, v5
	v_mul_f32_e32 v7, v95, v7
	v_lshlrev_b64_e32 v[93:94], 3, v[128:129]
	v_add_co_u32 v79, vcc_lo, v38, v79
	s_wait_alu 0xfffd
	v_add_co_ci_u32_e32 v80, vcc_lo, v40, v80, vcc_lo
	v_add_co_u32 v81, vcc_lo, v38, v81
	v_dual_fmac_f32 v27, 0x3f5db3d7, v46 :: v_dual_fmamk_f32 v46, v30, 0x3f5db3d7, v26
	v_dual_fmac_f32 v26, 0xbf5db3d7, v30 :: v_dual_fmamk_f32 v49, v83, 0xbf5db3d7, v43
	;; [unrolled: 1-line block ×3, first 2 shown]
	v_fmac_f32_e32 v7, v12, v6
	v_dual_fmac_f32 v42, 0xbf5db3d7, v102 :: v_dual_fmac_f32 v5, v10, v4
	v_fma_f32 v3, v52, v3, -v36
	v_fmac_f32_e32 v51, v23, v52
	global_store_b64 v[60:61], v[44:45], off
	v_fmac_f32_e32 v53, v25, v54
	v_mul_f32_e32 v23, v22, v57
	v_fma_f32 v9, v54, v9, -v50
	v_mul_f32_e32 v25, v24, v59
	v_mul_f32_e32 v36, v8, v59
	v_fma_f32 v44, v4, v106, -v55
	v_fma_f32 v45, v6, v95, -v88
	s_wait_alu 0xfffd
	v_add_co_ci_u32_e32 v82, vcc_lo, v40, v82, vcc_lo
	v_add_co_u32 v93, vcc_lo, v38, v93
	s_wait_alu 0xfffd
	v_add_co_ci_u32_e32 v94, vcc_lo, v40, v94, vcc_lo
	v_mul_f32_e32 v30, v2, v57
	s_clause 0x4
	global_store_b64 v[0:1], v[42:43], off
	global_store_b64 v[76:77], v[48:49], off
	;; [unrolled: 1-line block ×5, first 2 shown]
	v_mul_f32_e32 v29, v87, v111
	v_dual_add_f32 v0, v3, v9 :: v_dual_add_f32 v43, v5, v7
	v_add_f32_e32 v6, v140, v3
	v_add_f32_e32 v26, v41, v51
	v_fma_f32 v8, v58, v8, -v25
	v_add_f32_e32 v25, v44, v45
	v_mul_f32_e32 v27, v85, v109
	v_dual_sub_f32 v28, v5, v7 :: v_dual_mul_f32 v49, v20, v92
	v_dual_add_f32 v5, v37, v5 :: v_dual_fmac_f32 v36, v24, v58
	s_delay_alu instid0(VALU_DEP_3)
	v_dual_mul_f32 v24, v21, v111 :: v_dual_fmac_f32 v27, v19, v108
	v_dual_sub_f32 v12, v3, v9 :: v_dual_fmac_f32 v29, v21, v110
	v_fma_f32 v23, v56, v2, -v23
	v_fmac_f32_e32 v30, v22, v56
	v_dual_mul_f32 v22, v19, v109 :: v_dual_mul_f32 v19, v18, v90
	v_add_f32_e32 v3, v6, v9
	v_fma_f32 v48, v110, v87, -v24
	v_fma_f32 v24, -0.5, v25, v133
	v_dual_add_f32 v25, v5, v7 :: v_dual_add_f32 v10, v51, v53
	v_dual_sub_f32 v4, v51, v53 :: v_dual_add_f32 v9, v141, v23
	v_fma_f32 v1, -0.5, v0, v140
	v_add_f32_e32 v42, v133, v44
	v_dual_sub_f32 v44, v44, v45 :: v_dual_mul_f32 v51, v86, v92
	v_fma_f32 v0, -0.5, v10, v41
	v_add_f32_e32 v6, v23, v8
	v_sub_f32_e32 v10, v30, v36
	v_dual_add_f32 v41, v30, v36 :: v_dual_add_f32 v30, v39, v30
	v_fma_f32 v47, v108, v85, -v22
	v_mul_f32_e32 v50, v84, v90
	v_add_f32_e32 v2, v26, v53
	v_sub_f32_e32 v46, v23, v8
	v_fma_f32 v23, -0.5, v43, v37
	v_dual_fmamk_f32 v5, v4, 0xbf5db3d7, v1 :: v_dual_add_f32 v26, v42, v45
	v_dual_fmac_f32 v1, 0x3f5db3d7, v4 :: v_dual_fmamk_f32 v4, v12, 0x3f5db3d7, v0
	v_fmac_f32_e32 v0, 0xbf5db3d7, v12
	v_add_f32_e32 v21, v30, v36
	v_dual_sub_f32 v37, v27, v29 :: v_dual_add_f32 v30, v142, v47
	v_fma_f32 v42, v89, v84, -v19
	v_fma_f32 v43, v91, v86, -v49
	v_dual_fmac_f32 v50, v18, v89 :: v_dual_fmac_f32 v51, v20, v91
	v_fma_f32 v7, -0.5, v6, v141
	v_fma_f32 v6, -0.5, v41, v39
	v_add_f32_e32 v12, v47, v48
	v_add_f32_e32 v36, v27, v29
	v_sub_f32_e32 v39, v47, v48
	v_add_f32_e32 v41, v35, v27
	v_mul_f32_e32 v45, v17, v115
	v_mul_f32_e32 v47, v104, v113
	v_dual_mul_f32 v49, v100, v115 :: v_dual_mul_f32 v20, v15, v113
	v_dual_add_f32 v22, v9, v8 :: v_dual_fmamk_f32 v19, v28, 0xbf5db3d7, v24
	v_dual_fmac_f32 v24, 0x3f5db3d7, v28 :: v_dual_add_f32 v29, v41, v29
	v_fmamk_f32 v18, v44, 0x3f5db3d7, v23
	v_fmac_f32_e32 v23, 0xbf5db3d7, v44
	v_fmamk_f32 v9, v10, 0xbf5db3d7, v7
	v_dual_fmac_f32 v7, 0x3f5db3d7, v10 :: v_dual_fmamk_f32 v8, v46, 0x3f5db3d7, v6
	v_dual_fmac_f32 v47, v15, v112 :: v_dual_fmac_f32 v6, 0xbf5db3d7, v46
	v_dual_add_f32 v30, v30, v48 :: v_dual_mul_f32 v53, v99, v119
	v_fma_f32 v27, -0.5, v36, v35
	v_dual_add_f32 v10, v42, v43 :: v_dual_add_f32 v41, v143, v42
	v_fma_f32 v45, v114, v100, -v45
	v_fmac_f32_e32 v49, v17, v114
	s_delay_alu instid0(VALU_DEP_4)
	v_dual_fmamk_f32 v35, v39, 0x3f5db3d7, v27 :: v_dual_add_f32 v46, v50, v51
	v_fma_f32 v20, v112, v104, -v20
	v_fma_f32 v28, -0.5, v12, v142
	v_sub_f32_e32 v12, v50, v51
	v_dual_sub_f32 v48, v42, v43 :: v_dual_fmac_f32 v53, v16, v118
	v_dual_add_f32 v50, v34, v50 :: v_dual_fmac_f32 v27, 0xbf5db3d7, v39
	v_dual_mul_f32 v17, v16, v119 :: v_dual_mul_f32 v52, v103, v117
	v_fma_f32 v42, -0.5, v10, v143
	v_dual_add_f32 v44, v41, v43 :: v_dual_mul_f32 v55, v107, v121
	v_add_f32_e32 v39, v47, v49
	v_fma_f32 v41, -0.5, v46, v34
	v_add_f32_e32 v10, v20, v45
	v_dual_mul_f32 v15, v14, v117 :: v_dual_fmamk_f32 v36, v37, 0xbf5db3d7, v28
	v_dual_fmac_f32 v28, 0x3f5db3d7, v37 :: v_dual_add_f32 v43, v50, v51
	v_sub_f32_e32 v37, v47, v49
	v_fma_f32 v50, v118, v99, -v17
	v_fmac_f32_e32 v52, v14, v116
	v_fmamk_f32 v14, v48, 0x3f5db3d7, v41
	v_fmac_f32_e32 v41, 0xbf5db3d7, v48
	v_fma_f32 v17, -0.5, v10, v144
	v_add_f32_e32 v46, v33, v47
	v_fma_f32 v47, v116, v103, -v15
	v_fmamk_f32 v15, v12, 0xbf5db3d7, v42
	v_dual_add_f32 v34, v144, v20 :: v_dual_mul_f32 v51, v11, v121
	v_dual_mul_f32 v56, v96, v123 :: v_dual_fmac_f32 v55, v11, v120
	v_fmamk_f32 v11, v37, 0xbf5db3d7, v17
	v_mul_f32_e32 v54, v13, v123
	v_sub_f32_e32 v20, v20, v45
	v_dual_fmac_f32 v42, 0x3f5db3d7, v12 :: v_dual_fmac_f32 v17, 0x3f5db3d7, v37
	v_fma_f32 v16, -0.5, v39, v33
	v_add_f32_e32 v33, v46, v49
	v_add_f32_e32 v34, v34, v45
	v_dual_sub_f32 v39, v52, v53 :: v_dual_add_f32 v12, v47, v50
	v_add_f32_e32 v45, v145, v47
	v_sub_f32_e32 v49, v47, v50
	v_add_f32_e32 v47, v32, v52
	v_fma_f32 v51, v120, v107, -v51
	v_fmac_f32_e32 v56, v13, v122
	v_add_f32_e32 v48, v52, v53
	v_fma_f32 v52, v122, v96, -v54
	v_fmamk_f32 v10, v20, 0x3f5db3d7, v16
	v_fma_f32 v13, -0.5, v12, v145
	v_add_f32_e32 v46, v45, v50
	v_add_f32_e32 v50, v146, v51
	v_dual_sub_f32 v54, v51, v52 :: v_dual_mov_b32 v133, v78
	v_fmac_f32_e32 v16, 0xbf5db3d7, v20
	v_add_f32_e32 v20, v51, v52
	v_add_f32_e32 v51, v31, v55
	v_sub_f32_e32 v37, v55, v56
	v_fma_f32 v12, -0.5, v48, v32
	v_add_f32_e32 v45, v47, v53
	v_add_f32_e32 v53, v55, v56
	v_mov_b32_e32 v131, v138
	v_mad_co_u64_u32 v[60:61], null, s8, v74, 0
	v_fmamk_f32 v47, v49, 0x3f5db3d7, v12
	v_dual_fmac_f32 v12, 0xbf5db3d7, v49 :: v_dual_add_f32 v49, v51, v56
	v_mad_co_u64_u32 v[55:56], null, s9, v75, v[105:106]
	v_fma_f32 v32, -0.5, v20, v146
	v_fma_f32 v31, -0.5, v53, v31
	v_lshlrev_b64_e32 v[97:98], 3, v[130:131]
	v_lshlrev_b64_e32 v[58:59], 3, v[132:133]
	v_mad_co_u64_u32 v[78:79], null, s8, v73, 0
	s_delay_alu instid0(VALU_DEP_4)
	v_fmamk_f32 v51, v54, 0x3f5db3d7, v31
	v_fmac_f32_e32 v31, 0xbf5db3d7, v54
	v_mad_co_u64_u32 v[53:54], null, s8, v72, 0
	v_dual_mov_b32 v135, v55 :: v_dual_add_f32 v50, v50, v52
	v_fmamk_f32 v52, v37, 0xbf5db3d7, v32
	v_fmac_f32_e32 v32, 0x3f5db3d7, v37
	v_add_co_u32 v56, vcc_lo, v38, v97
	v_mov_b32_e32 v20, v54
	s_wait_alu 0xfffd
	v_add_co_ci_u32_e32 v57, vcc_lo, v40, v98, vcc_lo
	v_add_co_u32 v58, vcc_lo, v38, v58
	s_delay_alu instid0(VALU_DEP_3)
	v_mad_co_u64_u32 v[75:76], null, s9, v72, v[20:21]
	v_lshlrev_b64_e32 v[76:77], 3, v[134:135]
	v_mov_b32_e32 v20, v61
	s_wait_alu 0xfffd
	v_add_co_ci_u32_e32 v59, vcc_lo, v40, v59, vcc_lo
	s_clause 0x1
	global_store_b64 v[56:57], v[25:26], off
	global_store_b64 v[58:59], v[23:24], off
	v_mov_b32_e32 v54, v75
	v_mad_co_u64_u32 v[74:75], null, s9, v74, v[20:21]
	v_add_co_u32 v75, vcc_lo, v38, v76
	s_wait_alu 0xfffd
	v_add_co_ci_u32_e32 v76, vcc_lo, v40, v77, vcc_lo
	v_mov_b32_e32 v20, v79
	v_mad_co_u64_u32 v[25:26], null, s8, v68, 0
	global_store_b64 v[75:76], v[18:19], off
	v_lshlrev_b64_e32 v[23:24], 3, v[53:54]
	v_mad_co_u64_u32 v[18:19], null, s9, v73, v[20:21]
	v_dual_fmamk_f32 v48, v39, 0xbf5db3d7, v13 :: v_dual_mov_b32 v61, v74
	v_mul_hi_u32 v37, 0x50e89cc3, v69
	s_delay_alu instid0(VALU_DEP_4)
	v_add_co_u32 v19, vcc_lo, v38, v23
	s_wait_alu 0xfffd
	v_add_co_ci_u32_e32 v20, vcc_lo, v40, v24, vcc_lo
	v_dual_mov_b32 v79, v18 :: v_dual_mov_b32 v18, v26
	v_lshlrev_b64_e32 v[23:24], 3, v[60:61]
	v_mad_co_u64_u32 v[55:56], null, s8, v71, 0
	s_delay_alu instid0(VALU_DEP_3) | instskip(NEXT) | instid1(VALU_DEP_4)
	v_lshlrev_b64_e32 v[53:54], 3, v[78:79]
	v_mad_co_u64_u32 v[57:58], null, s9, v68, v[18:19]
	v_lshrrev_b32_e32 v26, 8, v37
	v_add_co_u32 v23, vcc_lo, v38, v23
	v_mad_co_u64_u32 v[58:59], null, s8, v70, 0
	s_wait_alu 0xfffd
	v_add_co_ci_u32_e32 v24, vcc_lo, v40, v24, vcc_lo
	v_add_co_u32 v53, vcc_lo, v38, v53
	v_mad_u32_u24 v37, 0x654, v26, v69
	v_mov_b32_e32 v18, v56
	v_mov_b32_e32 v26, v57
	s_wait_alu 0xfffd
	v_add_co_ci_u32_e32 v54, vcc_lo, v40, v54, vcc_lo
	s_clause 0x2
	global_store_b64 v[19:20], v[49:50], off
	global_store_b64 v[23:24], v[31:32], off
	;; [unrolled: 1-line block ×3, first 2 shown]
	v_mad_co_u64_u32 v[68:69], null, s9, v71, v[18:19]
	v_lshlrev_b64_e32 v[19:20], 3, v[25:26]
	v_mad_co_u64_u32 v[60:61], null, s8, v37, 0
	v_dual_mov_b32 v18, v59 :: v_dual_fmac_f32 v13, 0x3f5db3d7, v39
	s_delay_alu instid0(VALU_DEP_4) | instskip(NEXT) | instid1(VALU_DEP_2)
	v_dual_mov_b32 v56, v68 :: v_dual_add_nc_u32 v39, 0x32a, v37
	v_mad_co_u64_u32 v[24:25], null, s9, v70, v[18:19]
	s_delay_alu instid0(VALU_DEP_4)
	v_mov_b32_e32 v23, v61
	v_add_co_u32 v18, vcc_lo, v38, v19
	s_wait_alu 0xfffd
	v_add_co_ci_u32_e32 v19, vcc_lo, v40, v20, vcc_lo
	v_mul_hi_u32 v20, 0x50e89cc3, v67
	v_mad_co_u64_u32 v[25:26], null, s9, v37, v[23:24]
	v_mov_b32_e32 v59, v24
	v_mad_co_u64_u32 v[23:24], null, s8, v39, 0
	v_lshlrev_b64_e32 v[31:32], 3, v[55:56]
	v_add_nc_u32_e32 v56, 0x654, v37
	v_lshrrev_b32_e32 v51, 8, v20
	s_delay_alu instid0(VALU_DEP_4) | instskip(NEXT) | instid1(VALU_DEP_4)
	v_dual_mov_b32 v61, v25 :: v_dual_mov_b32 v20, v24
	v_add_co_u32 v25, vcc_lo, v38, v31
	s_wait_alu 0xfffd
	v_add_co_ci_u32_e32 v26, vcc_lo, v40, v32, vcc_lo
	v_lshlrev_b64_e32 v[31:32], 3, v[58:59]
	v_mad_u32_u24 v59, 0x654, v51, v67
	v_mad_co_u64_u32 v[51:52], null, s9, v39, v[20:21]
	v_mad_co_u64_u32 v[52:53], null, s8, v56, 0
	s_delay_alu instid0(VALU_DEP_3)
	v_mad_co_u64_u32 v[54:55], null, s8, v59, 0
	v_add_nc_u32_e32 v39, 0x32a, v59
	v_lshlrev_b64_e32 v[49:50], 3, v[60:61]
	v_add_co_u32 v31, vcc_lo, v38, v31
	v_mov_b32_e32 v20, v53
	s_wait_alu 0xfffd
	v_add_co_ci_u32_e32 v32, vcc_lo, v40, v32, vcc_lo
	v_mov_b32_e32 v37, v55
	v_add_co_u32 v49, vcc_lo, v38, v49
	v_mad_co_u64_u32 v[55:56], null, s9, v56, v[20:21]
	s_delay_alu instid0(VALU_DEP_3) | instskip(SKIP_3) | instid1(VALU_DEP_4)
	v_mad_co_u64_u32 v[56:57], null, s9, v59, v[37:38]
	v_mad_co_u64_u32 v[57:58], null, s8, v39, 0
	s_wait_alu 0xfffd
	v_add_co_ci_u32_e32 v50, vcc_lo, v40, v50, vcc_lo
	v_dual_mov_b32 v53, v55 :: v_dual_mov_b32 v24, v51
	s_clause 0x3
	global_store_b64 v[18:19], v[45:46], off
	global_store_b64 v[25:26], v[12:13], off
	;; [unrolled: 1-line block ×4, first 2 shown]
	v_mov_b32_e32 v18, v58
	v_lshlrev_b64_e32 v[19:20], 3, v[52:53]
	v_lshlrev_b64_e32 v[12:13], 3, v[23:24]
	v_add_nc_u32_e32 v33, 0x654, v59
	v_mov_b32_e32 v55, v56
	s_delay_alu instid0(VALU_DEP_4) | instskip(NEXT) | instid1(VALU_DEP_3)
	v_mad_co_u64_u32 v[25:26], null, s9, v39, v[18:19]
	v_mad_co_u64_u32 v[31:32], null, s8, v33, 0
	v_add_co_u32 v12, vcc_lo, v38, v12
	s_wait_alu 0xfffd
	v_add_co_ci_u32_e32 v13, vcc_lo, v40, v13, vcc_lo
	s_delay_alu instid0(VALU_DEP_4)
	v_mov_b32_e32 v58, v25
	v_mad_co_u64_u32 v[25:26], null, s8, v64, 0
	v_lshlrev_b64_e32 v[23:24], 3, v[54:55]
	global_store_b64 v[12:13], v[16:17], off
	v_mov_b32_e32 v12, v32
	v_add_co_u32 v18, vcc_lo, v38, v19
	s_wait_alu 0xfffd
	v_add_co_ci_u32_e32 v19, vcc_lo, v40, v20, vcc_lo
	v_add_co_u32 v23, vcc_lo, v38, v23
	v_mad_co_u64_u32 v[12:13], null, s9, v33, v[12:13]
	v_mov_b32_e32 v13, v26
	s_wait_alu 0xfffd
	v_add_co_ci_u32_e32 v24, vcc_lo, v40, v24, vcc_lo
	s_clause 0x1
	global_store_b64 v[18:19], v[10:11], off
	global_store_b64 v[23:24], v[43:44], off
	v_lshlrev_b64_e32 v[10:11], 3, v[57:58]
	v_mad_co_u64_u32 v[16:17], null, s8, v66, 0
	v_mad_co_u64_u32 v[18:19], null, s9, v64, v[13:14]
	v_mul_hi_u32 v19, 0x50e89cc3, v63
	v_mov_b32_e32 v32, v12
	v_mad_co_u64_u32 v[12:13], null, s8, v65, 0
	v_add_co_u32 v10, vcc_lo, v38, v10
	s_wait_alu 0xfffd
	v_add_co_ci_u32_e32 v11, vcc_lo, v40, v11, vcc_lo
	v_mov_b32_e32 v26, v18
	v_mad_co_u64_u32 v[17:18], null, s9, v66, v[17:18]
	v_lshrrev_b32_e32 v18, 8, v19
	global_store_b64 v[10:11], v[41:42], off
	v_lshlrev_b64_e32 v[10:11], 3, v[31:32]
	v_mad_co_u64_u32 v[23:24], null, s9, v65, v[13:14]
	v_mad_u32_u24 v20, 0x654, v18, v63
	v_lshlrev_b64_e32 v[18:19], 3, v[25:26]
	s_delay_alu instid0(VALU_DEP_4) | instskip(NEXT) | instid1(VALU_DEP_3)
	v_add_co_u32 v10, vcc_lo, v38, v10
	v_mad_co_u64_u32 v[24:25], null, s8, v20, 0
	s_wait_alu 0xfffd
	v_add_co_ci_u32_e32 v11, vcc_lo, v40, v11, vcc_lo
	v_mov_b32_e32 v13, v23
	v_add_nc_u32_e32 v23, 0x654, v20
	v_add_co_u32 v18, vcc_lo, v38, v18
	global_store_b64 v[10:11], v[14:15], off
	v_lshlrev_b64_e32 v[11:12], 3, v[12:13]
	v_mov_b32_e32 v10, v25
	v_lshlrev_b64_e32 v[14:15], 3, v[16:17]
	s_wait_alu 0xfffd
	v_add_co_ci_u32_e32 v19, vcc_lo, v40, v19, vcc_lo
	s_delay_alu instid0(VALU_DEP_3) | instskip(SKIP_1) | instid1(VALU_DEP_4)
	v_mad_co_u64_u32 v[16:17], null, s9, v20, v[10:11]
	v_mul_hi_u32 v17, 0x50e89cc3, v62
	v_add_co_u32 v13, vcc_lo, v38, v14
	global_store_b64 v[18:19], v[29:30], off
	s_wait_alu 0xfffd
	v_add_co_ci_u32_e32 v14, vcc_lo, v40, v15, vcc_lo
	v_add_nc_u32_e32 v19, 0x32a, v20
	v_add_co_u32 v10, vcc_lo, v38, v11
	s_wait_alu 0xfffd
	v_add_co_ci_u32_e32 v11, vcc_lo, v40, v12, vcc_lo
	v_mov_b32_e32 v25, v16
	v_lshrrev_b32_e32 v12, 8, v17
	v_mad_co_u64_u32 v[15:16], null, s8, v19, 0
	s_clause 0x1
	global_store_b64 v[13:14], v[27:28], off
	global_store_b64 v[10:11], v[35:36], off
	v_lshlrev_b64_e32 v[10:11], 3, v[24:25]
	v_mad_u32_u24 v25, 0x654, v12, v62
	v_mad_co_u64_u32 v[12:13], null, s8, v23, 0
	s_delay_alu instid0(VALU_DEP_2) | instskip(SKIP_1) | instid1(VALU_DEP_2)
	v_dual_mov_b32 v14, v16 :: v_dual_add_nc_u32 v27, 0x32a, v25
	v_mad_co_u64_u32 v[17:18], null, s8, v25, 0
	v_mad_co_u64_u32 v[19:20], null, s9, v19, v[14:15]
	s_delay_alu instid0(VALU_DEP_4) | instskip(NEXT) | instid1(VALU_DEP_4)
	v_mad_co_u64_u32 v[13:14], null, s9, v23, v[13:14]
	v_mad_co_u64_u32 v[23:24], null, s8, v27, 0
	v_add_co_u32 v10, vcc_lo, v38, v10
	s_wait_alu 0xfffd
	v_add_co_ci_u32_e32 v11, vcc_lo, v40, v11, vcc_lo
	v_add_nc_u32_e32 v28, 0x654, v25
	v_mov_b32_e32 v14, v18
	v_mov_b32_e32 v16, v19
	global_store_b64 v[10:11], v[21:22], off
	v_mov_b32_e32 v10, v24
	v_mad_co_u64_u32 v[19:20], null, s8, v28, 0
	v_mad_co_u64_u32 v[25:26], null, s9, v25, v[14:15]
	s_delay_alu instid0(VALU_DEP_3) | instskip(SKIP_2) | instid1(VALU_DEP_4)
	v_mad_co_u64_u32 v[10:11], null, s9, v27, v[10:11]
	v_lshlrev_b64_e32 v[14:15], 3, v[15:16]
	v_lshlrev_b64_e32 v[12:13], 3, v[12:13]
	v_dual_mov_b32 v11, v20 :: v_dual_mov_b32 v18, v25
	s_delay_alu instid0(VALU_DEP_3) | instskip(NEXT) | instid1(VALU_DEP_2)
	v_add_co_u32 v14, vcc_lo, v38, v14
	v_mad_co_u64_u32 v[20:21], null, s9, v28, v[11:12]
	v_mov_b32_e32 v24, v10
	s_wait_alu 0xfffd
	v_add_co_ci_u32_e32 v15, vcc_lo, v40, v15, vcc_lo
	v_lshlrev_b64_e32 v[16:17], 3, v[17:18]
	v_add_co_u32 v10, vcc_lo, v38, v12
	s_wait_alu 0xfffd
	v_add_co_ci_u32_e32 v11, vcc_lo, v40, v13, vcc_lo
	v_lshlrev_b64_e32 v[12:13], 3, v[23:24]
	s_delay_alu instid0(VALU_DEP_4) | instskip(SKIP_3) | instid1(VALU_DEP_4)
	v_add_co_u32 v16, vcc_lo, v38, v16
	v_lshlrev_b64_e32 v[18:19], 3, v[19:20]
	s_wait_alu 0xfffd
	v_add_co_ci_u32_e32 v17, vcc_lo, v40, v17, vcc_lo
	v_add_co_u32 v12, vcc_lo, v38, v12
	s_wait_alu 0xfffd
	v_add_co_ci_u32_e32 v13, vcc_lo, v40, v13, vcc_lo
	v_add_co_u32 v18, vcc_lo, v38, v18
	s_wait_alu 0xfffd
	v_add_co_ci_u32_e32 v19, vcc_lo, v40, v19, vcc_lo
	s_clause 0x4
	global_store_b64 v[14:15], v[6:7], off
	global_store_b64 v[10:11], v[8:9], off
	;; [unrolled: 1-line block ×5, first 2 shown]
.LBB0_15:
	s_nop 0
	s_sendmsg sendmsg(MSG_DEALLOC_VGPRS)
	s_endpgm
	.section	.rodata,"a",@progbits
	.p2align	6, 0x0
	.amdhsa_kernel fft_rtc_back_len2430_factors_10_3_3_3_3_3_wgs_81_tpt_81_halfLds_sp_ip_CI_sbrr_dirReg
		.amdhsa_group_segment_fixed_size 0
		.amdhsa_private_segment_fixed_size 0
		.amdhsa_kernarg_size 88
		.amdhsa_user_sgpr_count 2
		.amdhsa_user_sgpr_dispatch_ptr 0
		.amdhsa_user_sgpr_queue_ptr 0
		.amdhsa_user_sgpr_kernarg_segment_ptr 1
		.amdhsa_user_sgpr_dispatch_id 0
		.amdhsa_user_sgpr_private_segment_size 0
		.amdhsa_wavefront_size32 1
		.amdhsa_uses_dynamic_stack 0
		.amdhsa_enable_private_segment 0
		.amdhsa_system_sgpr_workgroup_id_x 1
		.amdhsa_system_sgpr_workgroup_id_y 0
		.amdhsa_system_sgpr_workgroup_id_z 0
		.amdhsa_system_sgpr_workgroup_info 0
		.amdhsa_system_vgpr_workitem_id 0
		.amdhsa_next_free_vgpr 172
		.amdhsa_next_free_sgpr 35
		.amdhsa_reserve_vcc 1
		.amdhsa_float_round_mode_32 0
		.amdhsa_float_round_mode_16_64 0
		.amdhsa_float_denorm_mode_32 3
		.amdhsa_float_denorm_mode_16_64 3
		.amdhsa_fp16_overflow 0
		.amdhsa_workgroup_processor_mode 1
		.amdhsa_memory_ordered 1
		.amdhsa_forward_progress 0
		.amdhsa_round_robin_scheduling 0
		.amdhsa_exception_fp_ieee_invalid_op 0
		.amdhsa_exception_fp_denorm_src 0
		.amdhsa_exception_fp_ieee_div_zero 0
		.amdhsa_exception_fp_ieee_overflow 0
		.amdhsa_exception_fp_ieee_underflow 0
		.amdhsa_exception_fp_ieee_inexact 0
		.amdhsa_exception_int_div_zero 0
	.end_amdhsa_kernel
	.text
.Lfunc_end0:
	.size	fft_rtc_back_len2430_factors_10_3_3_3_3_3_wgs_81_tpt_81_halfLds_sp_ip_CI_sbrr_dirReg, .Lfunc_end0-fft_rtc_back_len2430_factors_10_3_3_3_3_3_wgs_81_tpt_81_halfLds_sp_ip_CI_sbrr_dirReg
                                        ; -- End function
	.section	.AMDGPU.csdata,"",@progbits
; Kernel info:
; codeLenInByte = 22132
; NumSgprs: 37
; NumVgprs: 172
; ScratchSize: 0
; MemoryBound: 0
; FloatMode: 240
; IeeeMode: 1
; LDSByteSize: 0 bytes/workgroup (compile time only)
; SGPRBlocks: 4
; VGPRBlocks: 21
; NumSGPRsForWavesPerEU: 37
; NumVGPRsForWavesPerEU: 172
; Occupancy: 8
; WaveLimiterHint : 1
; COMPUTE_PGM_RSRC2:SCRATCH_EN: 0
; COMPUTE_PGM_RSRC2:USER_SGPR: 2
; COMPUTE_PGM_RSRC2:TRAP_HANDLER: 0
; COMPUTE_PGM_RSRC2:TGID_X_EN: 1
; COMPUTE_PGM_RSRC2:TGID_Y_EN: 0
; COMPUTE_PGM_RSRC2:TGID_Z_EN: 0
; COMPUTE_PGM_RSRC2:TIDIG_COMP_CNT: 0
	.text
	.p2alignl 7, 3214868480
	.fill 96, 4, 3214868480
	.type	__hip_cuid_b0c3d334537c8808,@object ; @__hip_cuid_b0c3d334537c8808
	.section	.bss,"aw",@nobits
	.globl	__hip_cuid_b0c3d334537c8808
__hip_cuid_b0c3d334537c8808:
	.byte	0                               ; 0x0
	.size	__hip_cuid_b0c3d334537c8808, 1

	.ident	"AMD clang version 19.0.0git (https://github.com/RadeonOpenCompute/llvm-project roc-6.4.0 25133 c7fe45cf4b819c5991fe208aaa96edf142730f1d)"
	.section	".note.GNU-stack","",@progbits
	.addrsig
	.addrsig_sym __hip_cuid_b0c3d334537c8808
	.amdgpu_metadata
---
amdhsa.kernels:
  - .args:
      - .actual_access:  read_only
        .address_space:  global
        .offset:         0
        .size:           8
        .value_kind:     global_buffer
      - .offset:         8
        .size:           8
        .value_kind:     by_value
      - .actual_access:  read_only
        .address_space:  global
        .offset:         16
        .size:           8
        .value_kind:     global_buffer
      - .actual_access:  read_only
        .address_space:  global
        .offset:         24
        .size:           8
        .value_kind:     global_buffer
      - .offset:         32
        .size:           8
        .value_kind:     by_value
      - .actual_access:  read_only
        .address_space:  global
        .offset:         40
        .size:           8
        .value_kind:     global_buffer
      - .actual_access:  read_only
        .address_space:  global
        .offset:         48
        .size:           8
        .value_kind:     global_buffer
      - .offset:         56
        .size:           4
        .value_kind:     by_value
      - .actual_access:  read_only
        .address_space:  global
        .offset:         64
        .size:           8
        .value_kind:     global_buffer
      - .actual_access:  read_only
        .address_space:  global
        .offset:         72
        .size:           8
        .value_kind:     global_buffer
      - .address_space:  global
        .offset:         80
        .size:           8
        .value_kind:     global_buffer
    .group_segment_fixed_size: 0
    .kernarg_segment_align: 8
    .kernarg_segment_size: 88
    .language:       OpenCL C
    .language_version:
      - 2
      - 0
    .max_flat_workgroup_size: 81
    .name:           fft_rtc_back_len2430_factors_10_3_3_3_3_3_wgs_81_tpt_81_halfLds_sp_ip_CI_sbrr_dirReg
    .private_segment_fixed_size: 0
    .sgpr_count:     37
    .sgpr_spill_count: 0
    .symbol:         fft_rtc_back_len2430_factors_10_3_3_3_3_3_wgs_81_tpt_81_halfLds_sp_ip_CI_sbrr_dirReg.kd
    .uniform_work_group_size: 1
    .uses_dynamic_stack: false
    .vgpr_count:     172
    .vgpr_spill_count: 0
    .wavefront_size: 32
    .workgroup_processor_mode: 1
amdhsa.target:   amdgcn-amd-amdhsa--gfx1201
amdhsa.version:
  - 1
  - 2
...

	.end_amdgpu_metadata
